;; amdgpu-corpus repo=LLNL/RAJAPerf kind=compiled arch=gfx906 opt=O3
	.amdgcn_target "amdgcn-amd-amdhsa--gfx906"
	.amdhsa_code_object_version 6
	.section	.text._ZN7rocprim6detail21init_histogram_kernelINS0_24wrapped_histogram_configINS_14default_configElLj1ELj1EEELj1EyEEvNS0_11fixed_arrayIPT1_XT0_EEENS5_IjXT0_EEE,"axG",@progbits,_ZN7rocprim6detail21init_histogram_kernelINS0_24wrapped_histogram_configINS_14default_configElLj1ELj1EEELj1EyEEvNS0_11fixed_arrayIPT1_XT0_EEENS5_IjXT0_EEE,comdat
	.protected	_ZN7rocprim6detail21init_histogram_kernelINS0_24wrapped_histogram_configINS_14default_configElLj1ELj1EEELj1EyEEvNS0_11fixed_arrayIPT1_XT0_EEENS5_IjXT0_EEE ; -- Begin function _ZN7rocprim6detail21init_histogram_kernelINS0_24wrapped_histogram_configINS_14default_configElLj1ELj1EEELj1EyEEvNS0_11fixed_arrayIPT1_XT0_EEENS5_IjXT0_EEE
	.globl	_ZN7rocprim6detail21init_histogram_kernelINS0_24wrapped_histogram_configINS_14default_configElLj1ELj1EEELj1EyEEvNS0_11fixed_arrayIPT1_XT0_EEENS5_IjXT0_EEE
	.p2align	8
	.type	_ZN7rocprim6detail21init_histogram_kernelINS0_24wrapped_histogram_configINS_14default_configElLj1ELj1EEELj1EyEEvNS0_11fixed_arrayIPT1_XT0_EEENS5_IjXT0_EEE,@function
_ZN7rocprim6detail21init_histogram_kernelINS0_24wrapped_histogram_configINS_14default_configElLj1ELj1EEELj1EyEEvNS0_11fixed_arrayIPT1_XT0_EEENS5_IjXT0_EEE: ; @_ZN7rocprim6detail21init_histogram_kernelINS0_24wrapped_histogram_configINS_14default_configElLj1ELj1EEELj1EyEEvNS0_11fixed_arrayIPT1_XT0_EEENS5_IjXT0_EEE
; %bb.0:
	s_load_dword s0, s[4:5], 0x8
	v_lshl_or_b32 v0, s6, 8, v0
	s_waitcnt lgkmcnt(0)
	v_cmp_gt_u32_e32 vcc, s0, v0
	s_and_saveexec_b64 s[0:1], vcc
	s_cbranch_execz .LBB0_2
; %bb.1:
	s_load_dwordx2 s[0:1], s[4:5], 0x0
	v_mov_b32_e32 v1, 0
	v_lshlrev_b64 v[2:3], 3, v[0:1]
	s_waitcnt lgkmcnt(0)
	v_mov_b32_e32 v0, s1
	v_add_co_u32_e32 v2, vcc, s0, v2
	v_addc_co_u32_e32 v3, vcc, v0, v3, vcc
	v_mov_b32_e32 v0, v1
	global_store_dwordx2 v[2:3], v[0:1], off
.LBB0_2:
	s_endpgm
	.section	.rodata,"a",@progbits
	.p2align	6, 0x0
	.amdhsa_kernel _ZN7rocprim6detail21init_histogram_kernelINS0_24wrapped_histogram_configINS_14default_configElLj1ELj1EEELj1EyEEvNS0_11fixed_arrayIPT1_XT0_EEENS5_IjXT0_EEE
		.amdhsa_group_segment_fixed_size 0
		.amdhsa_private_segment_fixed_size 0
		.amdhsa_kernarg_size 12
		.amdhsa_user_sgpr_count 6
		.amdhsa_user_sgpr_private_segment_buffer 1
		.amdhsa_user_sgpr_dispatch_ptr 0
		.amdhsa_user_sgpr_queue_ptr 0
		.amdhsa_user_sgpr_kernarg_segment_ptr 1
		.amdhsa_user_sgpr_dispatch_id 0
		.amdhsa_user_sgpr_flat_scratch_init 0
		.amdhsa_user_sgpr_private_segment_size 0
		.amdhsa_uses_dynamic_stack 0
		.amdhsa_system_sgpr_private_segment_wavefront_offset 0
		.amdhsa_system_sgpr_workgroup_id_x 1
		.amdhsa_system_sgpr_workgroup_id_y 0
		.amdhsa_system_sgpr_workgroup_id_z 0
		.amdhsa_system_sgpr_workgroup_info 0
		.amdhsa_system_vgpr_workitem_id 0
		.amdhsa_next_free_vgpr 4
		.amdhsa_next_free_sgpr 7
		.amdhsa_reserve_vcc 1
		.amdhsa_reserve_flat_scratch 0
		.amdhsa_float_round_mode_32 0
		.amdhsa_float_round_mode_16_64 0
		.amdhsa_float_denorm_mode_32 3
		.amdhsa_float_denorm_mode_16_64 3
		.amdhsa_dx10_clamp 1
		.amdhsa_ieee_mode 1
		.amdhsa_fp16_overflow 0
		.amdhsa_exception_fp_ieee_invalid_op 0
		.amdhsa_exception_fp_denorm_src 0
		.amdhsa_exception_fp_ieee_div_zero 0
		.amdhsa_exception_fp_ieee_overflow 0
		.amdhsa_exception_fp_ieee_underflow 0
		.amdhsa_exception_fp_ieee_inexact 0
		.amdhsa_exception_int_div_zero 0
	.end_amdhsa_kernel
	.section	.text._ZN7rocprim6detail21init_histogram_kernelINS0_24wrapped_histogram_configINS_14default_configElLj1ELj1EEELj1EyEEvNS0_11fixed_arrayIPT1_XT0_EEENS5_IjXT0_EEE,"axG",@progbits,_ZN7rocprim6detail21init_histogram_kernelINS0_24wrapped_histogram_configINS_14default_configElLj1ELj1EEELj1EyEEvNS0_11fixed_arrayIPT1_XT0_EEENS5_IjXT0_EEE,comdat
.Lfunc_end0:
	.size	_ZN7rocprim6detail21init_histogram_kernelINS0_24wrapped_histogram_configINS_14default_configElLj1ELj1EEELj1EyEEvNS0_11fixed_arrayIPT1_XT0_EEENS5_IjXT0_EEE, .Lfunc_end0-_ZN7rocprim6detail21init_histogram_kernelINS0_24wrapped_histogram_configINS_14default_configElLj1ELj1EEELj1EyEEvNS0_11fixed_arrayIPT1_XT0_EEENS5_IjXT0_EEE
                                        ; -- End function
	.set _ZN7rocprim6detail21init_histogram_kernelINS0_24wrapped_histogram_configINS_14default_configElLj1ELj1EEELj1EyEEvNS0_11fixed_arrayIPT1_XT0_EEENS5_IjXT0_EEE.num_vgpr, 4
	.set _ZN7rocprim6detail21init_histogram_kernelINS0_24wrapped_histogram_configINS_14default_configElLj1ELj1EEELj1EyEEvNS0_11fixed_arrayIPT1_XT0_EEENS5_IjXT0_EEE.num_agpr, 0
	.set _ZN7rocprim6detail21init_histogram_kernelINS0_24wrapped_histogram_configINS_14default_configElLj1ELj1EEELj1EyEEvNS0_11fixed_arrayIPT1_XT0_EEENS5_IjXT0_EEE.numbered_sgpr, 7
	.set _ZN7rocprim6detail21init_histogram_kernelINS0_24wrapped_histogram_configINS_14default_configElLj1ELj1EEELj1EyEEvNS0_11fixed_arrayIPT1_XT0_EEENS5_IjXT0_EEE.num_named_barrier, 0
	.set _ZN7rocprim6detail21init_histogram_kernelINS0_24wrapped_histogram_configINS_14default_configElLj1ELj1EEELj1EyEEvNS0_11fixed_arrayIPT1_XT0_EEENS5_IjXT0_EEE.private_seg_size, 0
	.set _ZN7rocprim6detail21init_histogram_kernelINS0_24wrapped_histogram_configINS_14default_configElLj1ELj1EEELj1EyEEvNS0_11fixed_arrayIPT1_XT0_EEENS5_IjXT0_EEE.uses_vcc, 1
	.set _ZN7rocprim6detail21init_histogram_kernelINS0_24wrapped_histogram_configINS_14default_configElLj1ELj1EEELj1EyEEvNS0_11fixed_arrayIPT1_XT0_EEENS5_IjXT0_EEE.uses_flat_scratch, 0
	.set _ZN7rocprim6detail21init_histogram_kernelINS0_24wrapped_histogram_configINS_14default_configElLj1ELj1EEELj1EyEEvNS0_11fixed_arrayIPT1_XT0_EEENS5_IjXT0_EEE.has_dyn_sized_stack, 0
	.set _ZN7rocprim6detail21init_histogram_kernelINS0_24wrapped_histogram_configINS_14default_configElLj1ELj1EEELj1EyEEvNS0_11fixed_arrayIPT1_XT0_EEENS5_IjXT0_EEE.has_recursion, 0
	.set _ZN7rocprim6detail21init_histogram_kernelINS0_24wrapped_histogram_configINS_14default_configElLj1ELj1EEELj1EyEEvNS0_11fixed_arrayIPT1_XT0_EEENS5_IjXT0_EEE.has_indirect_call, 0
	.section	.AMDGPU.csdata,"",@progbits
; Kernel info:
; codeLenInByte = 84
; TotalNumSgprs: 11
; NumVgprs: 4
; ScratchSize: 0
; MemoryBound: 0
; FloatMode: 240
; IeeeMode: 1
; LDSByteSize: 0 bytes/workgroup (compile time only)
; SGPRBlocks: 1
; VGPRBlocks: 0
; NumSGPRsForWavesPerEU: 11
; NumVGPRsForWavesPerEU: 4
; Occupancy: 10
; WaveLimiterHint : 0
; COMPUTE_PGM_RSRC2:SCRATCH_EN: 0
; COMPUTE_PGM_RSRC2:USER_SGPR: 6
; COMPUTE_PGM_RSRC2:TRAP_HANDLER: 0
; COMPUTE_PGM_RSRC2:TGID_X_EN: 1
; COMPUTE_PGM_RSRC2:TGID_Y_EN: 0
; COMPUTE_PGM_RSRC2:TGID_Z_EN: 0
; COMPUTE_PGM_RSRC2:TIDIG_COMP_CNT: 0
	.section	.text._ZN7rocprim6detail23histogram_shared_kernelINS0_24wrapped_histogram_configINS_14default_configElLj1ELj1EEELj1ELj1EPlyNS0_18sample_to_bin_evenIlvEEEEvT2_jjjjjNS0_11fixed_arrayIPT3_XT1_EEENS9_IT4_XT1_EEENS9_IjXT1_EEE,"axG",@progbits,_ZN7rocprim6detail23histogram_shared_kernelINS0_24wrapped_histogram_configINS_14default_configElLj1ELj1EEELj1ELj1EPlyNS0_18sample_to_bin_evenIlvEEEEvT2_jjjjjNS0_11fixed_arrayIPT3_XT1_EEENS9_IT4_XT1_EEENS9_IjXT1_EEE,comdat
	.protected	_ZN7rocprim6detail23histogram_shared_kernelINS0_24wrapped_histogram_configINS_14default_configElLj1ELj1EEELj1ELj1EPlyNS0_18sample_to_bin_evenIlvEEEEvT2_jjjjjNS0_11fixed_arrayIPT3_XT1_EEENS9_IT4_XT1_EEENS9_IjXT1_EEE ; -- Begin function _ZN7rocprim6detail23histogram_shared_kernelINS0_24wrapped_histogram_configINS_14default_configElLj1ELj1EEELj1ELj1EPlyNS0_18sample_to_bin_evenIlvEEEEvT2_jjjjjNS0_11fixed_arrayIPT3_XT1_EEENS9_IT4_XT1_EEENS9_IjXT1_EEE
	.globl	_ZN7rocprim6detail23histogram_shared_kernelINS0_24wrapped_histogram_configINS_14default_configElLj1ELj1EEELj1ELj1EPlyNS0_18sample_to_bin_evenIlvEEEEvT2_jjjjjNS0_11fixed_arrayIPT3_XT1_EEENS9_IT4_XT1_EEENS9_IjXT1_EEE
	.p2align	8
	.type	_ZN7rocprim6detail23histogram_shared_kernelINS0_24wrapped_histogram_configINS_14default_configElLj1ELj1EEELj1ELj1EPlyNS0_18sample_to_bin_evenIlvEEEEvT2_jjjjjNS0_11fixed_arrayIPT3_XT1_EEENS9_IT4_XT1_EEENS9_IjXT1_EEE,@function
_ZN7rocprim6detail23histogram_shared_kernelINS0_24wrapped_histogram_configINS_14default_configElLj1ELj1EEELj1ELj1EPlyNS0_18sample_to_bin_evenIlvEEEEvT2_jjjjjNS0_11fixed_arrayIPT3_XT1_EEENS9_IT4_XT1_EEENS9_IjXT1_EEE: ; @_ZN7rocprim6detail23histogram_shared_kernelINS0_24wrapped_histogram_configINS_14default_configElLj1ELj1EEELj1ELj1EPlyNS0_18sample_to_bin_evenIlvEEEEvT2_jjjjjNS0_11fixed_arrayIPT3_XT1_EEENS9_IT4_XT1_EEENS9_IjXT1_EEE
; %bb.0:
	s_load_dword s33, s[4:5], 0x18
	s_load_dwordx4 s[8:11], s[4:5], 0x8
	s_load_dwordx4 s[12:15], s[4:5], 0x30
	s_load_dwordx2 s[16:17], s[4:5], 0x40
	s_load_dword s38, s[4:5], 0x48
	s_load_dword s20, s[4:5], 0x50
	v_mov_b32_e32 v3, 0
	v_lshl_add_u32 v10, v0, 2, 0
	s_waitcnt lgkmcnt(0)
	v_cvt_f32_u32_e32 v1, s33
	s_sub_i32 s0, 0, s33
	s_mul_i32 s18, s38, s33
	v_cmp_gt_u32_e32 vcc, s18, v0
	v_rcp_iflag_f32_e32 v1, v1
	v_mul_f32_e32 v1, 0x4f7ffffe, v1
	v_cvt_u32_f32_e32 v1, v1
	v_mul_lo_u32 v2, s0, v1
	v_mul_hi_u32 v2, v1, v2
	v_add_u32_e32 v1, v1, v2
	v_mad_u64_u32 v[1:2], s[0:1], v0, v1, 0
	s_and_saveexec_b64 s[0:1], vcc
	s_cbranch_execz .LBB1_3
; %bb.1:
	v_lshl_add_u32 v1, v0, 2, 0
	s_mov_b64 s[2:3], 0
	v_mov_b32_e32 v4, v0
.LBB1_2:                                ; =>This Inner Loop Header: Depth=1
	v_add_u32_e32 v4, 0x100, v4
	v_cmp_le_u32_e32 vcc, s18, v4
	ds_write_b32 v1, v3
	s_or_b64 s[2:3], vcc, s[2:3]
	v_add_u32_e32 v1, 0x400, v1
	s_andn2_b64 exec, exec, s[2:3]
	s_cbranch_execnz .LBB1_2
.LBB1_3:
	s_or_b64 exec, exec, s[0:1]
	s_mul_i32 s39, s11, s7
	s_add_i32 s0, s39, s11
	s_min_u32 s9, s9, s0
	s_cmp_ge_u32 s39, s9
	s_waitcnt lgkmcnt(0)
	s_barrier
	s_cbranch_scc1 .LBB1_51
; %bb.4:
	v_mul_lo_u32 v1, v2, s33
	s_load_dwordx2 s[18:19], s[4:5], 0x0
	s_lshl_b32 s11, s6, 9
	s_cmp_gt_u32 s8, s11
	v_sub_u32_e32 v1, v0, v1
	v_subrev_u32_e32 v2, s33, v1
	v_cmp_le_u32_e32 vcc, s33, v1
	v_cndmask_b32_e32 v1, v1, v2, vcc
	v_subrev_u32_e32 v2, s33, v1
	v_cmp_le_u32_e32 vcc, s33, v1
	v_cndmask_b32_e32 v1, v1, v2, vcc
	v_mul_lo_u32 v1, v1, s38
	s_cselect_b64 s[0:1], -1, 0
	v_cndmask_b32_e64 v2, 0, 1, s[0:1]
	s_mov_b32 s21, 0
	v_lshl_add_u32 v11, v1, 2, 0
	v_lshlrev_b32_e32 v12, 1, v0
	v_mov_b32_e32 v1, 0
	s_lshl_b32 s40, s20, 9
	s_sub_i32 s41, s8, s11
	v_cmp_ne_u32_e64 s[0:1], 1, v2
	v_mov_b32_e32 v13, 1
	s_ashr_i32 s22, s17, 31
                                        ; implicit-def: $vgpr6
                                        ; implicit-def: $vgpr14
	s_branch .LBB1_6
.LBB1_5:                                ;   in Loop: Header=BB1_6 Depth=1
	s_add_i32 s39, s39, 1
	s_cmp_ge_u32 s39, s9
	s_cbranch_scc1 .LBB1_51
.LBB1_6:                                ; =>This Loop Header: Depth=1
                                        ;     Child Loop BB1_9 Depth 2
	s_and_b64 vcc, exec, s[0:1]
	s_cbranch_vccnz .LBB1_5
; %bb.7:                                ;   in Loop: Header=BB1_6 Depth=1
	s_mul_i32 s20, s39, s10
	s_lshl_b64 s[2:3], s[20:21], 3
	s_waitcnt lgkmcnt(0)
	s_add_u32 s2, s18, s2
	s_addc_u32 s3, s19, s3
	s_waitcnt vmcnt(0)
	v_lshlrev_b32_e32 v3, 3, v0
	v_mov_b32_e32 v2, s3
	v_add_co_u32_e32 v15, vcc, s2, v3
	v_addc_co_u32_e32 v16, vcc, 0, v2, vcc
	v_lshlrev_b32_e32 v3, 3, v12
	v_add_co_u32_e32 v17, vcc, s2, v3
	v_addc_co_u32_e32 v18, vcc, 0, v2, vcc
	s_mov_b32 s42, s41
	s_mov_b32 s20, s11
	s_branch .LBB1_9
.LBB1_8:                                ;   in Loop: Header=BB1_9 Depth=2
	s_or_b64 exec, exec, s[2:3]
	s_add_i32 s20, s20, s40
	s_sub_i32 s42, s42, s40
	s_cmp_lt_u32 s20, s8
	s_cbranch_scc0 .LBB1_5
.LBB1_9:                                ;   Parent Loop BB1_6 Depth=1
                                        ; =>  This Inner Loop Header: Depth=2
	s_add_i32 s2, s20, 0x200
	s_cmp_gt_u32 s2, s8
	s_cbranch_scc1 .LBB1_26
; %bb.10:                               ;   in Loop: Header=BB1_9 Depth=2
	s_lshl_b64 s[2:3], s[20:21], 3
	s_waitcnt vmcnt(0)
	v_mov_b32_e32 v2, s3
	v_add_co_u32_e32 v19, vcc, s2, v15
	v_addc_co_u32_e32 v20, vcc, v16, v2, vcc
	global_load_dwordx2 v[8:9], v[19:20], off
	global_load_dwordx2 v[3:4], v[19:20], off offset:2048
	v_mov_b32_e32 v7, v14
	s_waitcnt vmcnt(1)
	v_cmp_le_i64_e32 vcc, s[12:13], v[8:9]
	v_cmp_gt_i64_e64 s[2:3], s[14:15], v[8:9]
	s_and_b64 s[6:7], vcc, s[2:3]
	s_and_saveexec_b64 s[24:25], s[6:7]
	s_cbranch_execz .LBB1_16
; %bb.11:                               ;   in Loop: Header=BB1_9 Depth=2
	v_mov_b32_e32 v2, s13
	v_subrev_co_u32_e32 v5, vcc, s12, v8
	v_subb_co_u32_e32 v9, vcc, v9, v2, vcc
	v_or_b32_e32 v2, s17, v9
	v_cmp_ne_u64_e32 vcc, 0, v[1:2]
                                        ; implicit-def: $vgpr7_vgpr8
	s_and_saveexec_b64 s[2:3], vcc
	s_xor_b64 s[26:27], exec, s[2:3]
	s_cbranch_execz .LBB1_13
; %bb.12:                               ;   in Loop: Header=BB1_9 Depth=2
	s_add_u32 s2, s16, s22
	s_mov_b32 s23, s22
	s_addc_u32 s3, s17, s22
	s_xor_b64 s[28:29], s[2:3], s[22:23]
	v_cvt_f32_u32_e32 v2, s28
	v_cvt_f32_u32_e32 v7, s29
	s_sub_u32 s23, 0, s28
	s_subb_u32 s30, 0, s29
	v_mac_f32_e32 v2, 0x4f800000, v7
	v_rcp_f32_e32 v2, v2
	v_mul_f32_e32 v2, 0x5f7ffffc, v2
	v_mul_f32_e32 v7, 0x2f800000, v2
	v_trunc_f32_e32 v7, v7
	v_mac_f32_e32 v2, 0xcf800000, v7
	v_cvt_u32_f32_e32 v7, v7
	v_cvt_u32_f32_e32 v2, v2
	v_readfirstlane_b32 s31, v7
	v_readfirstlane_b32 s2, v2
	s_mul_i32 s3, s23, s31
	s_mul_hi_u32 s35, s23, s2
	s_mul_i32 s34, s30, s2
	s_add_i32 s3, s35, s3
	s_add_i32 s3, s3, s34
	s_mul_i32 s36, s23, s2
	s_mul_i32 s35, s2, s3
	s_mul_hi_u32 s37, s2, s36
	s_mul_hi_u32 s34, s2, s3
	s_add_u32 s35, s37, s35
	s_addc_u32 s34, 0, s34
	s_mul_hi_u32 s43, s31, s36
	s_mul_i32 s36, s31, s36
	s_add_u32 s35, s35, s36
	s_mul_hi_u32 s37, s31, s3
	s_addc_u32 s34, s34, s43
	s_addc_u32 s35, s37, 0
	s_mul_i32 s3, s31, s3
	s_add_u32 s3, s34, s3
	s_addc_u32 s34, 0, s35
	s_add_u32 s35, s2, s3
	s_cselect_b64 s[2:3], -1, 0
	s_cmp_lg_u64 s[2:3], 0
	s_addc_u32 s31, s31, s34
	s_mul_i32 s2, s23, s31
	s_mul_hi_u32 s3, s23, s35
	s_add_i32 s2, s3, s2
	s_mul_i32 s30, s30, s35
	s_add_i32 s2, s2, s30
	s_mul_i32 s23, s23, s35
	s_mul_hi_u32 s30, s31, s23
	s_mul_i32 s34, s31, s23
	s_mul_i32 s37, s35, s2
	s_mul_hi_u32 s23, s35, s23
	s_mul_hi_u32 s36, s35, s2
	s_add_u32 s23, s23, s37
	s_addc_u32 s36, 0, s36
	s_add_u32 s23, s23, s34
	s_mul_hi_u32 s3, s31, s2
	s_addc_u32 s23, s36, s30
	s_addc_u32 s3, s3, 0
	s_mul_i32 s2, s31, s2
	s_add_u32 s2, s23, s2
	s_addc_u32 s23, 0, s3
	s_add_u32 s30, s35, s2
	s_cselect_b64 s[2:3], -1, 0
	v_ashrrev_i32_e32 v2, 31, v9
	s_cmp_lg_u64 s[2:3], 0
	v_add_co_u32_e32 v5, vcc, v5, v2
	s_addc_u32 s23, s31, s23
	v_xor_b32_e32 v5, v5, v2
	v_mad_u64_u32 v[7:8], s[2:3], v5, s23, 0
	v_mul_hi_u32 v19, v5, s30
	v_addc_co_u32_e32 v9, vcc, v9, v2, vcc
	v_xor_b32_e32 v9, v9, v2
	v_add_co_u32_e32 v21, vcc, v19, v7
	v_addc_co_u32_e32 v22, vcc, 0, v8, vcc
	v_mad_u64_u32 v[7:8], s[2:3], v9, s30, 0
	v_mad_u64_u32 v[19:20], s[2:3], v9, s23, 0
	v_add_co_u32_e32 v7, vcc, v21, v7
	v_addc_co_u32_e32 v7, vcc, v22, v8, vcc
	v_addc_co_u32_e32 v8, vcc, 0, v20, vcc
	v_add_co_u32_e32 v19, vcc, v7, v19
	v_addc_co_u32_e32 v7, vcc, 0, v8, vcc
	v_mul_lo_u32 v20, s29, v19
	v_mul_lo_u32 v21, s28, v7
	v_mad_u64_u32 v[7:8], s[2:3], s28, v19, 0
	v_xor_b32_e32 v2, s22, v2
	v_add3_u32 v8, v8, v21, v20
	v_sub_u32_e32 v20, v9, v8
	v_mov_b32_e32 v21, s29
	v_sub_co_u32_e32 v5, vcc, v5, v7
	v_subb_co_u32_e64 v7, s[2:3], v20, v21, vcc
	v_subrev_co_u32_e64 v20, s[2:3], s28, v5
	v_subbrev_co_u32_e64 v7, s[2:3], 0, v7, s[2:3]
	v_cmp_le_u32_e64 s[2:3], s29, v7
	v_subb_co_u32_e32 v8, vcc, v9, v8, vcc
	v_cndmask_b32_e64 v21, 0, -1, s[2:3]
	v_cmp_le_u32_e64 s[2:3], s28, v20
	v_cmp_le_u32_e32 vcc, s29, v8
	v_cndmask_b32_e64 v20, 0, -1, s[2:3]
	v_cmp_eq_u32_e64 s[2:3], s29, v7
	v_cndmask_b32_e64 v9, 0, -1, vcc
	v_cmp_le_u32_e32 vcc, s28, v5
	v_cndmask_b32_e64 v7, v21, v20, s[2:3]
	v_cndmask_b32_e64 v5, 0, -1, vcc
	v_cmp_eq_u32_e32 vcc, s29, v8
	v_add_co_u32_e64 v20, s[2:3], 2, v19
	v_add_co_u32_e64 v21, s[2:3], 1, v19
	v_cndmask_b32_e32 v5, v9, v5, vcc
	v_cmp_ne_u32_e32 vcc, 0, v7
	v_cndmask_b32_e32 v7, v21, v20, vcc
	v_cmp_ne_u32_e32 vcc, 0, v5
	v_cndmask_b32_e32 v5, v19, v7, vcc
	v_xor_b32_e32 v5, v5, v2
	v_sub_co_u32_e32 v7, vcc, v5, v2
                                        ; implicit-def: $vgpr5
.LBB1_13:                               ;   in Loop: Header=BB1_9 Depth=2
	s_andn2_saveexec_b64 s[2:3], s[26:27]
	s_cbranch_execz .LBB1_15
; %bb.14:                               ;   in Loop: Header=BB1_9 Depth=2
	v_cvt_f32_u32_e32 v2, s16
	s_sub_i32 s23, 0, s16
	v_rcp_iflag_f32_e32 v2, v2
	v_mul_f32_e32 v2, 0x4f7ffffe, v2
	v_cvt_u32_f32_e32 v2, v2
	v_mul_lo_u32 v7, s23, v2
	v_mul_hi_u32 v7, v2, v7
	v_add_u32_e32 v2, v2, v7
	v_mul_hi_u32 v2, v5, v2
	v_mul_lo_u32 v7, v2, s16
	v_add_u32_e32 v8, 1, v2
	v_sub_u32_e32 v5, v5, v7
	v_subrev_u32_e32 v7, s16, v5
	v_cmp_le_u32_e32 vcc, s16, v5
	v_cndmask_b32_e32 v5, v5, v7, vcc
	v_cndmask_b32_e32 v2, v2, v8, vcc
	v_add_u32_e32 v7, 1, v2
	v_cmp_le_u32_e32 vcc, s16, v5
	v_cndmask_b32_e32 v7, v2, v7, vcc
.LBB1_15:                               ;   in Loop: Header=BB1_9 Depth=2
	s_or_b64 exec, exec, s[2:3]
.LBB1_16:                               ;   in Loop: Header=BB1_9 Depth=2
	s_or_b64 exec, exec, s[24:25]
	s_and_saveexec_b64 s[2:3], s[6:7]
; %bb.17:                               ;   in Loop: Header=BB1_9 Depth=2
	v_lshl_add_u32 v2, v7, 2, v11
	ds_add_u32 v2, v13
; %bb.18:                               ;   in Loop: Header=BB1_9 Depth=2
	s_or_b64 exec, exec, s[2:3]
	s_waitcnt vmcnt(0)
	v_cmp_le_i64_e32 vcc, s[12:13], v[3:4]
	v_cmp_gt_i64_e64 s[2:3], s[14:15], v[3:4]
	s_and_b64 s[24:25], vcc, s[2:3]
	s_and_saveexec_b64 s[6:7], s[24:25]
	s_cbranch_execz .LBB1_24
; %bb.19:                               ;   in Loop: Header=BB1_9 Depth=2
	v_mov_b32_e32 v2, s13
	v_subrev_co_u32_e32 v3, vcc, s12, v3
	v_subb_co_u32_e32 v4, vcc, v4, v2, vcc
	v_or_b32_e32 v2, s17, v4
	v_cmp_ne_u64_e32 vcc, 0, v[1:2]
                                        ; implicit-def: $vgpr7_vgpr8
	s_and_saveexec_b64 s[2:3], vcc
	s_xor_b64 s[26:27], exec, s[2:3]
	s_cbranch_execz .LBB1_21
; %bb.20:                               ;   in Loop: Header=BB1_9 Depth=2
	s_add_u32 s2, s16, s22
	s_mov_b32 s23, s22
	s_addc_u32 s3, s17, s22
	s_xor_b64 s[28:29], s[2:3], s[22:23]
	v_cvt_f32_u32_e32 v2, s28
	v_cvt_f32_u32_e32 v5, s29
	s_sub_u32 s23, 0, s28
	s_subb_u32 s30, 0, s29
	v_ashrrev_i32_e32 v7, 31, v4
	v_mac_f32_e32 v2, 0x4f800000, v5
	v_rcp_f32_e32 v2, v2
	v_mul_f32_e32 v2, 0x5f7ffffc, v2
	v_mul_f32_e32 v5, 0x2f800000, v2
	v_trunc_f32_e32 v5, v5
	v_mac_f32_e32 v2, 0xcf800000, v5
	v_cvt_u32_f32_e32 v5, v5
	v_cvt_u32_f32_e32 v2, v2
	v_readfirstlane_b32 s31, v5
	v_readfirstlane_b32 s2, v2
	s_mul_i32 s3, s23, s31
	s_mul_hi_u32 s35, s23, s2
	s_mul_i32 s34, s30, s2
	s_add_i32 s3, s35, s3
	s_add_i32 s3, s3, s34
	s_mul_i32 s36, s23, s2
	s_mul_i32 s35, s2, s3
	s_mul_hi_u32 s37, s2, s36
	s_mul_hi_u32 s34, s2, s3
	s_add_u32 s35, s37, s35
	s_addc_u32 s34, 0, s34
	s_mul_hi_u32 s43, s31, s36
	s_mul_i32 s36, s31, s36
	s_add_u32 s35, s35, s36
	s_mul_hi_u32 s37, s31, s3
	s_addc_u32 s34, s34, s43
	s_addc_u32 s35, s37, 0
	s_mul_i32 s3, s31, s3
	s_add_u32 s3, s34, s3
	s_addc_u32 s34, 0, s35
	s_add_u32 s35, s2, s3
	s_cselect_b64 s[2:3], -1, 0
	s_cmp_lg_u64 s[2:3], 0
	s_addc_u32 s31, s31, s34
	s_mul_i32 s2, s23, s31
	s_mul_hi_u32 s3, s23, s35
	s_add_i32 s2, s3, s2
	s_mul_i32 s30, s30, s35
	s_add_i32 s2, s2, s30
	s_mul_i32 s23, s23, s35
	s_mul_hi_u32 s30, s31, s23
	s_mul_i32 s34, s31, s23
	s_mul_i32 s37, s35, s2
	s_mul_hi_u32 s23, s35, s23
	s_mul_hi_u32 s36, s35, s2
	s_add_u32 s23, s23, s37
	s_addc_u32 s36, 0, s36
	s_add_u32 s23, s23, s34
	s_mul_hi_u32 s3, s31, s2
	s_addc_u32 s23, s36, s30
	s_addc_u32 s3, s3, 0
	s_mul_i32 s2, s31, s2
	s_add_u32 s2, s23, s2
	s_addc_u32 s23, 0, s3
	s_add_u32 s30, s35, s2
	s_cselect_b64 s[2:3], -1, 0
	s_cmp_lg_u64 s[2:3], 0
	v_add_co_u32_e32 v2, vcc, v3, v7
	s_addc_u32 s23, s31, s23
	v_xor_b32_e32 v8, v2, v7
	v_mad_u64_u32 v[2:3], s[2:3], v8, s23, 0
	v_mul_hi_u32 v5, v8, s30
	v_addc_co_u32_e32 v4, vcc, v4, v7, vcc
	v_xor_b32_e32 v9, v4, v7
	v_add_co_u32_e32 v19, vcc, v5, v2
	v_addc_co_u32_e32 v20, vcc, 0, v3, vcc
	v_mad_u64_u32 v[2:3], s[2:3], v9, s30, 0
	v_mad_u64_u32 v[4:5], s[2:3], v9, s23, 0
	v_add_co_u32_e32 v2, vcc, v19, v2
	v_addc_co_u32_e32 v2, vcc, v20, v3, vcc
	v_addc_co_u32_e32 v3, vcc, 0, v5, vcc
	v_add_co_u32_e32 v4, vcc, v2, v4
	v_addc_co_u32_e32 v2, vcc, 0, v3, vcc
	v_mul_lo_u32 v5, s29, v4
	v_mul_lo_u32 v19, s28, v2
	v_mad_u64_u32 v[2:3], s[2:3], s28, v4, 0
	v_add3_u32 v3, v3, v19, v5
	v_sub_u32_e32 v5, v9, v3
	v_mov_b32_e32 v19, s29
	v_sub_co_u32_e32 v2, vcc, v8, v2
	v_subb_co_u32_e64 v5, s[2:3], v5, v19, vcc
	v_subrev_co_u32_e64 v8, s[2:3], s28, v2
	v_subbrev_co_u32_e64 v5, s[2:3], 0, v5, s[2:3]
	v_cmp_le_u32_e64 s[2:3], s29, v5
	v_subb_co_u32_e32 v3, vcc, v9, v3, vcc
	v_cndmask_b32_e64 v19, 0, -1, s[2:3]
	v_cmp_le_u32_e64 s[2:3], s28, v8
	v_cmp_le_u32_e32 vcc, s29, v3
	v_cndmask_b32_e64 v8, 0, -1, s[2:3]
	v_cmp_eq_u32_e64 s[2:3], s29, v5
	v_cndmask_b32_e64 v9, 0, -1, vcc
	v_cmp_le_u32_e32 vcc, s28, v2
	v_cndmask_b32_e64 v5, v19, v8, s[2:3]
	v_cndmask_b32_e64 v2, 0, -1, vcc
	v_cmp_eq_u32_e32 vcc, s29, v3
	v_add_co_u32_e64 v8, s[2:3], 2, v4
	v_add_co_u32_e64 v19, s[2:3], 1, v4
	v_cndmask_b32_e32 v2, v9, v2, vcc
	v_cmp_ne_u32_e32 vcc, 0, v5
	v_cndmask_b32_e32 v3, v19, v8, vcc
	v_cmp_ne_u32_e32 vcc, 0, v2
	v_cndmask_b32_e32 v2, v4, v3, vcc
	v_xor_b32_e32 v3, s22, v7
	v_xor_b32_e32 v2, v2, v3
	v_sub_co_u32_e32 v7, vcc, v2, v3
                                        ; implicit-def: $vgpr3
.LBB1_21:                               ;   in Loop: Header=BB1_9 Depth=2
	s_andn2_saveexec_b64 s[2:3], s[26:27]
	s_cbranch_execz .LBB1_23
; %bb.22:                               ;   in Loop: Header=BB1_9 Depth=2
	v_cvt_f32_u32_e32 v2, s16
	s_sub_i32 s23, 0, s16
	v_rcp_iflag_f32_e32 v2, v2
	v_mul_f32_e32 v2, 0x4f7ffffe, v2
	v_cvt_u32_f32_e32 v2, v2
	v_mul_lo_u32 v4, s23, v2
	v_mul_hi_u32 v4, v2, v4
	v_add_u32_e32 v2, v2, v4
	v_mul_hi_u32 v2, v3, v2
	v_mul_lo_u32 v4, v2, s16
	v_add_u32_e32 v5, 1, v2
	v_sub_u32_e32 v3, v3, v4
	v_subrev_u32_e32 v4, s16, v3
	v_cmp_le_u32_e32 vcc, s16, v3
	v_cndmask_b32_e32 v3, v3, v4, vcc
	v_cndmask_b32_e32 v2, v2, v5, vcc
	v_add_u32_e32 v4, 1, v2
	v_cmp_le_u32_e32 vcc, s16, v3
	v_cndmask_b32_e32 v7, v2, v4, vcc
.LBB1_23:                               ;   in Loop: Header=BB1_9 Depth=2
	s_or_b64 exec, exec, s[2:3]
.LBB1_24:                               ;   in Loop: Header=BB1_9 Depth=2
	s_or_b64 exec, exec, s[6:7]
.LBB1_25:                               ;   in Loop: Header=BB1_9 Depth=2
	v_mov_b32_e32 v14, v7
	s_and_saveexec_b64 s[2:3], s[24:25]
	s_cbranch_execz .LBB1_8
	s_branch .LBB1_50
.LBB1_26:                               ;   in Loop: Header=BB1_9 Depth=2
	s_mov_b64 s[24:25], 0
                                        ; implicit-def: $vgpr7
	s_cbranch_execz .LBB1_25
; %bb.27:                               ;   in Loop: Header=BB1_9 Depth=2
	s_lshl_b64 s[2:3], s[20:21], 3
	s_waitcnt vmcnt(0)
	v_mov_b32_e32 v2, s3
	v_add_co_u32_e32 v7, vcc, s2, v17
	v_addc_co_u32_e32 v8, vcc, v18, v2, vcc
	v_mov_b32_e32 v2, v1
	v_mov_b32_e32 v3, v1
	;; [unrolled: 1-line block ×4, first 2 shown]
	v_cmp_gt_u32_e32 vcc, s42, v12
	v_mov_b32_e32 v4, v3
	v_mov_b32_e32 v3, v2
	;; [unrolled: 1-line block ×3, first 2 shown]
	s_and_saveexec_b64 s[2:3], vcc
	s_cbranch_execz .LBB1_29
; %bb.28:                               ;   in Loop: Header=BB1_9 Depth=2
	global_load_dwordx2 v[2:3], v[7:8], off
	v_mov_b32_e32 v4, v1
	v_mov_b32_e32 v5, v1
.LBB1_29:                               ;   in Loop: Header=BB1_9 Depth=2
	s_or_b64 exec, exec, s[2:3]
	v_or_b32_e32 v9, 1, v12
	v_cmp_gt_u32_e64 s[2:3], s42, v9
	s_and_saveexec_b64 s[6:7], s[2:3]
	s_cbranch_execnz .LBB1_32
; %bb.30:                               ;   in Loop: Header=BB1_9 Depth=2
	s_or_b64 exec, exec, s[6:7]
	s_and_saveexec_b64 s[26:27], vcc
	s_cbranch_execnz .LBB1_33
.LBB1_31:                               ;   in Loop: Header=BB1_9 Depth=2
	s_or_b64 exec, exec, s[26:27]
	s_and_saveexec_b64 s[6:7], s[2:3]
	s_cbranch_execnz .LBB1_42
	s_branch .LBB1_49
.LBB1_32:                               ;   in Loop: Header=BB1_9 Depth=2
	global_load_dwordx2 v[4:5], v[7:8], off offset:8
	s_or_b64 exec, exec, s[6:7]
	s_and_saveexec_b64 s[26:27], vcc
	s_cbranch_execz .LBB1_31
.LBB1_33:                               ;   in Loop: Header=BB1_9 Depth=2
	s_waitcnt vmcnt(0)
	v_cmp_le_i64_e32 vcc, s[12:13], v[2:3]
	v_cmp_gt_i64_e64 s[6:7], s[14:15], v[2:3]
	s_and_b64 s[28:29], vcc, s[6:7]
	s_and_saveexec_b64 s[30:31], s[28:29]
	s_cbranch_execz .LBB1_39
; %bb.34:                               ;   in Loop: Header=BB1_9 Depth=2
	v_mov_b32_e32 v6, s13
	v_subrev_co_u32_e32 v8, vcc, s12, v2
	v_subb_co_u32_e32 v3, vcc, v3, v6, vcc
	v_or_b32_e32 v2, s17, v3
	v_cmp_ne_u64_e32 vcc, 0, v[1:2]
                                        ; implicit-def: $vgpr6_vgpr7
	s_and_saveexec_b64 s[6:7], vcc
	s_xor_b64 s[34:35], exec, s[6:7]
	s_cbranch_execz .LBB1_36
; %bb.35:                               ;   in Loop: Header=BB1_9 Depth=2
	s_add_u32 s6, s16, s22
	s_mov_b32 s23, s22
	s_addc_u32 s7, s17, s22
	s_xor_b64 s[36:37], s[6:7], s[22:23]
	v_cvt_f32_u32_e32 v2, s36
	v_cvt_f32_u32_e32 v6, s37
	s_sub_u32 s23, 0, s36
	s_subb_u32 s43, 0, s37
	v_ashrrev_i32_e32 v9, 31, v3
	v_mac_f32_e32 v2, 0x4f800000, v6
	v_rcp_f32_e32 v2, v2
	v_mul_f32_e32 v2, 0x5f7ffffc, v2
	v_mul_f32_e32 v6, 0x2f800000, v2
	v_trunc_f32_e32 v6, v6
	v_mac_f32_e32 v2, 0xcf800000, v6
	v_cvt_u32_f32_e32 v6, v6
	v_cvt_u32_f32_e32 v2, v2
	v_readfirstlane_b32 s44, v6
	v_readfirstlane_b32 s6, v2
	s_mul_i32 s7, s23, s44
	s_mul_hi_u32 s46, s23, s6
	s_mul_i32 s45, s43, s6
	s_add_i32 s7, s46, s7
	s_add_i32 s7, s7, s45
	s_mul_i32 s47, s23, s6
	s_mul_i32 s46, s6, s7
	s_mul_hi_u32 s48, s6, s47
	s_mul_hi_u32 s45, s6, s7
	s_add_u32 s46, s48, s46
	s_addc_u32 s45, 0, s45
	s_mul_hi_u32 s49, s44, s47
	s_mul_i32 s47, s44, s47
	s_add_u32 s46, s46, s47
	s_mul_hi_u32 s48, s44, s7
	s_addc_u32 s45, s45, s49
	s_addc_u32 s46, s48, 0
	s_mul_i32 s7, s44, s7
	s_add_u32 s7, s45, s7
	s_addc_u32 s45, 0, s46
	s_add_u32 s46, s6, s7
	s_cselect_b64 s[6:7], -1, 0
	s_cmp_lg_u64 s[6:7], 0
	s_addc_u32 s44, s44, s45
	s_mul_i32 s6, s23, s44
	s_mul_hi_u32 s7, s23, s46
	s_add_i32 s6, s7, s6
	s_mul_i32 s43, s43, s46
	s_add_i32 s6, s6, s43
	s_mul_i32 s23, s23, s46
	s_mul_hi_u32 s43, s44, s23
	s_mul_i32 s45, s44, s23
	s_mul_i32 s48, s46, s6
	s_mul_hi_u32 s23, s46, s23
	s_mul_hi_u32 s47, s46, s6
	s_add_u32 s23, s23, s48
	s_addc_u32 s47, 0, s47
	s_add_u32 s23, s23, s45
	s_mul_hi_u32 s7, s44, s6
	s_addc_u32 s23, s47, s43
	s_addc_u32 s7, s7, 0
	s_mul_i32 s6, s44, s6
	s_add_u32 s6, s23, s6
	s_addc_u32 s23, 0, s7
	s_add_u32 s43, s46, s6
	s_cselect_b64 s[6:7], -1, 0
	s_cmp_lg_u64 s[6:7], 0
	v_add_co_u32_e32 v2, vcc, v8, v9
	s_addc_u32 s23, s44, s23
	v_xor_b32_e32 v8, v2, v9
	v_addc_co_u32_e32 v6, vcc, v3, v9, vcc
	v_mad_u64_u32 v[2:3], s[6:7], v8, s23, 0
	v_mul_hi_u32 v7, v8, s43
	v_xor_b32_e32 v19, v6, v9
	v_add_co_u32_e32 v20, vcc, v7, v2
	v_addc_co_u32_e32 v21, vcc, 0, v3, vcc
	v_mad_u64_u32 v[2:3], s[6:7], v19, s43, 0
	v_mad_u64_u32 v[6:7], s[6:7], v19, s23, 0
	v_add_co_u32_e32 v2, vcc, v20, v2
	v_addc_co_u32_e32 v2, vcc, v21, v3, vcc
	v_addc_co_u32_e32 v3, vcc, 0, v7, vcc
	v_add_co_u32_e32 v6, vcc, v2, v6
	v_addc_co_u32_e32 v2, vcc, 0, v3, vcc
	v_mul_lo_u32 v7, s37, v6
	v_mul_lo_u32 v20, s36, v2
	v_mad_u64_u32 v[2:3], s[6:7], s36, v6, 0
	v_add3_u32 v3, v3, v20, v7
	v_sub_u32_e32 v7, v19, v3
	v_mov_b32_e32 v20, s37
	v_sub_co_u32_e32 v2, vcc, v8, v2
	v_subb_co_u32_e64 v7, s[6:7], v7, v20, vcc
	v_subrev_co_u32_e64 v8, s[6:7], s36, v2
	v_subbrev_co_u32_e64 v7, s[6:7], 0, v7, s[6:7]
	v_cmp_le_u32_e64 s[6:7], s37, v7
	v_subb_co_u32_e32 v3, vcc, v19, v3, vcc
	v_cndmask_b32_e64 v20, 0, -1, s[6:7]
	v_cmp_le_u32_e64 s[6:7], s36, v8
	v_cmp_le_u32_e32 vcc, s37, v3
	v_cndmask_b32_e64 v8, 0, -1, s[6:7]
	v_cmp_eq_u32_e64 s[6:7], s37, v7
	v_cndmask_b32_e64 v19, 0, -1, vcc
	v_cmp_le_u32_e32 vcc, s36, v2
	v_cndmask_b32_e64 v7, v20, v8, s[6:7]
	v_cndmask_b32_e64 v2, 0, -1, vcc
	v_cmp_eq_u32_e32 vcc, s37, v3
	v_add_co_u32_e64 v8, s[6:7], 2, v6
	v_add_co_u32_e64 v20, s[6:7], 1, v6
	v_cndmask_b32_e32 v2, v19, v2, vcc
	v_cmp_ne_u32_e32 vcc, 0, v7
	v_cndmask_b32_e32 v3, v20, v8, vcc
	v_cmp_ne_u32_e32 vcc, 0, v2
	v_cndmask_b32_e32 v2, v6, v3, vcc
	v_xor_b32_e32 v3, s22, v9
	v_xor_b32_e32 v2, v2, v3
	v_sub_co_u32_e32 v6, vcc, v2, v3
                                        ; implicit-def: $vgpr8
.LBB1_36:                               ;   in Loop: Header=BB1_9 Depth=2
	s_andn2_saveexec_b64 s[6:7], s[34:35]
	s_cbranch_execz .LBB1_38
; %bb.37:                               ;   in Loop: Header=BB1_9 Depth=2
	v_cvt_f32_u32_e32 v2, s16
	s_sub_i32 s23, 0, s16
	v_rcp_iflag_f32_e32 v2, v2
	v_mul_f32_e32 v2, 0x4f7ffffe, v2
	v_cvt_u32_f32_e32 v2, v2
	v_mul_lo_u32 v3, s23, v2
	v_mul_hi_u32 v3, v2, v3
	v_add_u32_e32 v2, v2, v3
	v_mul_hi_u32 v2, v8, v2
	v_mul_lo_u32 v3, v2, s16
	v_add_u32_e32 v6, 1, v2
	v_sub_u32_e32 v3, v8, v3
	v_subrev_u32_e32 v7, s16, v3
	v_cmp_le_u32_e32 vcc, s16, v3
	v_cndmask_b32_e32 v3, v3, v7, vcc
	v_cndmask_b32_e32 v2, v2, v6, vcc
	v_add_u32_e32 v6, 1, v2
	v_cmp_le_u32_e32 vcc, s16, v3
	v_cndmask_b32_e32 v6, v2, v6, vcc
.LBB1_38:                               ;   in Loop: Header=BB1_9 Depth=2
	s_or_b64 exec, exec, s[6:7]
.LBB1_39:                               ;   in Loop: Header=BB1_9 Depth=2
	s_or_b64 exec, exec, s[30:31]
	s_and_saveexec_b64 s[6:7], s[28:29]
; %bb.40:                               ;   in Loop: Header=BB1_9 Depth=2
	v_lshl_add_u32 v2, v6, 2, v11
	ds_add_u32 v2, v13
; %bb.41:                               ;   in Loop: Header=BB1_9 Depth=2
	s_or_b64 exec, exec, s[6:7]
	s_or_b64 exec, exec, s[26:27]
	s_and_saveexec_b64 s[6:7], s[2:3]
	s_cbranch_execz .LBB1_49
.LBB1_42:                               ;   in Loop: Header=BB1_9 Depth=2
	s_waitcnt vmcnt(0)
	v_cmp_le_i64_e32 vcc, s[12:13], v[4:5]
	v_cmp_gt_i64_e64 s[2:3], s[14:15], v[4:5]
	s_and_b64 s[26:27], vcc, s[2:3]
	s_and_saveexec_b64 s[28:29], s[26:27]
	s_cbranch_execz .LBB1_48
; %bb.43:                               ;   in Loop: Header=BB1_9 Depth=2
	v_mov_b32_e32 v2, s13
	v_subrev_co_u32_e32 v3, vcc, s12, v4
	v_subb_co_u32_e32 v4, vcc, v5, v2, vcc
	v_or_b32_e32 v2, s17, v4
	v_cmp_ne_u64_e32 vcc, 0, v[1:2]
                                        ; implicit-def: $vgpr6_vgpr7
	s_and_saveexec_b64 s[2:3], vcc
	s_xor_b64 s[30:31], exec, s[2:3]
	s_cbranch_execz .LBB1_45
; %bb.44:                               ;   in Loop: Header=BB1_9 Depth=2
	s_add_u32 s2, s16, s22
	s_mov_b32 s23, s22
	s_addc_u32 s3, s17, s22
	s_xor_b64 s[34:35], s[2:3], s[22:23]
	v_cvt_f32_u32_e32 v2, s34
	v_cvt_f32_u32_e32 v5, s35
	s_sub_u32 s23, 0, s34
	s_subb_u32 s36, 0, s35
	v_ashrrev_i32_e32 v6, 31, v4
	v_mac_f32_e32 v2, 0x4f800000, v5
	v_rcp_f32_e32 v2, v2
	v_mul_f32_e32 v2, 0x5f7ffffc, v2
	v_mul_f32_e32 v5, 0x2f800000, v2
	v_trunc_f32_e32 v5, v5
	v_mac_f32_e32 v2, 0xcf800000, v5
	v_cvt_u32_f32_e32 v5, v5
	v_cvt_u32_f32_e32 v2, v2
	v_readfirstlane_b32 s37, v5
	v_readfirstlane_b32 s2, v2
	s_mul_i32 s3, s23, s37
	s_mul_hi_u32 s44, s23, s2
	s_mul_i32 s43, s36, s2
	s_add_i32 s3, s44, s3
	s_add_i32 s3, s3, s43
	s_mul_i32 s45, s23, s2
	s_mul_i32 s44, s2, s3
	s_mul_hi_u32 s46, s2, s45
	s_mul_hi_u32 s43, s2, s3
	s_add_u32 s44, s46, s44
	s_addc_u32 s43, 0, s43
	s_mul_hi_u32 s47, s37, s45
	s_mul_i32 s45, s37, s45
	s_add_u32 s44, s44, s45
	s_mul_hi_u32 s46, s37, s3
	s_addc_u32 s43, s43, s47
	s_addc_u32 s44, s46, 0
	s_mul_i32 s3, s37, s3
	s_add_u32 s3, s43, s3
	s_addc_u32 s43, 0, s44
	s_add_u32 s44, s2, s3
	s_cselect_b64 s[2:3], -1, 0
	s_cmp_lg_u64 s[2:3], 0
	s_addc_u32 s37, s37, s43
	s_mul_i32 s2, s23, s37
	s_mul_hi_u32 s3, s23, s44
	s_add_i32 s2, s3, s2
	s_mul_i32 s36, s36, s44
	s_add_i32 s2, s2, s36
	s_mul_i32 s23, s23, s44
	s_mul_hi_u32 s36, s37, s23
	s_mul_i32 s43, s37, s23
	s_mul_i32 s46, s44, s2
	s_mul_hi_u32 s23, s44, s23
	s_mul_hi_u32 s45, s44, s2
	s_add_u32 s23, s23, s46
	s_addc_u32 s45, 0, s45
	s_add_u32 s23, s23, s43
	s_mul_hi_u32 s3, s37, s2
	s_addc_u32 s23, s45, s36
	s_addc_u32 s3, s3, 0
	s_mul_i32 s2, s37, s2
	s_add_u32 s2, s23, s2
	s_addc_u32 s23, 0, s3
	s_add_u32 s36, s44, s2
	s_cselect_b64 s[2:3], -1, 0
	s_cmp_lg_u64 s[2:3], 0
	v_add_co_u32_e32 v2, vcc, v3, v6
	s_addc_u32 s23, s37, s23
	v_xor_b32_e32 v7, v2, v6
	v_mad_u64_u32 v[2:3], s[2:3], v7, s23, 0
	v_mul_hi_u32 v5, v7, s36
	v_addc_co_u32_e32 v4, vcc, v4, v6, vcc
	v_xor_b32_e32 v8, v4, v6
	v_add_co_u32_e32 v9, vcc, v5, v2
	v_addc_co_u32_e32 v19, vcc, 0, v3, vcc
	v_mad_u64_u32 v[2:3], s[2:3], v8, s36, 0
	v_mad_u64_u32 v[4:5], s[2:3], v8, s23, 0
	v_add_co_u32_e32 v2, vcc, v9, v2
	v_addc_co_u32_e32 v2, vcc, v19, v3, vcc
	v_addc_co_u32_e32 v3, vcc, 0, v5, vcc
	v_add_co_u32_e32 v4, vcc, v2, v4
	v_addc_co_u32_e32 v2, vcc, 0, v3, vcc
	v_mul_lo_u32 v5, s35, v4
	v_mul_lo_u32 v9, s34, v2
	v_mad_u64_u32 v[2:3], s[2:3], s34, v4, 0
	v_add3_u32 v3, v3, v9, v5
	v_sub_u32_e32 v5, v8, v3
	v_mov_b32_e32 v9, s35
	v_sub_co_u32_e32 v2, vcc, v7, v2
	v_subb_co_u32_e64 v5, s[2:3], v5, v9, vcc
	v_subrev_co_u32_e64 v7, s[2:3], s34, v2
	v_subbrev_co_u32_e64 v5, s[2:3], 0, v5, s[2:3]
	v_cmp_le_u32_e64 s[2:3], s35, v5
	v_subb_co_u32_e32 v3, vcc, v8, v3, vcc
	v_cndmask_b32_e64 v9, 0, -1, s[2:3]
	v_cmp_le_u32_e64 s[2:3], s34, v7
	v_cmp_le_u32_e32 vcc, s35, v3
	v_cndmask_b32_e64 v7, 0, -1, s[2:3]
	v_cmp_eq_u32_e64 s[2:3], s35, v5
	v_cndmask_b32_e64 v8, 0, -1, vcc
	v_cmp_le_u32_e32 vcc, s34, v2
	v_cndmask_b32_e64 v5, v9, v7, s[2:3]
	v_cndmask_b32_e64 v2, 0, -1, vcc
	v_cmp_eq_u32_e32 vcc, s35, v3
	v_add_co_u32_e64 v7, s[2:3], 2, v4
	v_add_co_u32_e64 v9, s[2:3], 1, v4
	v_cndmask_b32_e32 v2, v8, v2, vcc
	v_cmp_ne_u32_e32 vcc, 0, v5
	v_cndmask_b32_e32 v3, v9, v7, vcc
	v_cmp_ne_u32_e32 vcc, 0, v2
	v_cndmask_b32_e32 v2, v4, v3, vcc
	v_xor_b32_e32 v3, s22, v6
	v_xor_b32_e32 v2, v2, v3
	v_sub_co_u32_e32 v6, vcc, v2, v3
                                        ; implicit-def: $vgpr3
.LBB1_45:                               ;   in Loop: Header=BB1_9 Depth=2
	s_andn2_saveexec_b64 s[2:3], s[30:31]
	s_cbranch_execz .LBB1_47
; %bb.46:                               ;   in Loop: Header=BB1_9 Depth=2
	v_cvt_f32_u32_e32 v2, s16
	s_sub_i32 s23, 0, s16
	v_rcp_iflag_f32_e32 v2, v2
	v_mul_f32_e32 v2, 0x4f7ffffe, v2
	v_cvt_u32_f32_e32 v2, v2
	v_mul_lo_u32 v4, s23, v2
	v_mul_hi_u32 v4, v2, v4
	v_add_u32_e32 v2, v2, v4
	v_mul_hi_u32 v2, v3, v2
	v_mul_lo_u32 v4, v2, s16
	v_add_u32_e32 v5, 1, v2
	v_sub_u32_e32 v3, v3, v4
	v_subrev_u32_e32 v4, s16, v3
	v_cmp_le_u32_e32 vcc, s16, v3
	v_cndmask_b32_e32 v3, v3, v4, vcc
	v_cndmask_b32_e32 v2, v2, v5, vcc
	v_add_u32_e32 v4, 1, v2
	v_cmp_le_u32_e32 vcc, s16, v3
	v_cndmask_b32_e32 v6, v2, v4, vcc
.LBB1_47:                               ;   in Loop: Header=BB1_9 Depth=2
	s_or_b64 exec, exec, s[2:3]
.LBB1_48:                               ;   in Loop: Header=BB1_9 Depth=2
	s_or_b64 exec, exec, s[28:29]
	s_andn2_b64 s[2:3], s[24:25], exec
	s_and_b64 s[24:25], s[26:27], exec
	s_or_b64 s[24:25], s[2:3], s[24:25]
.LBB1_49:                               ;   in Loop: Header=BB1_9 Depth=2
	s_or_b64 exec, exec, s[6:7]
	v_mov_b32_e32 v7, v6
	s_and_saveexec_b64 s[2:3], s[24:25]
	s_cbranch_execz .LBB1_8
.LBB1_50:                               ;   in Loop: Header=BB1_9 Depth=2
	s_waitcnt vmcnt(0)
	v_lshl_add_u32 v2, v7, 2, v11
	ds_add_u32 v2, v13
	s_branch .LBB1_8
.LBB1_51:
	v_cmp_gt_u32_e32 vcc, s38, v0
	s_waitcnt vmcnt(0) lgkmcnt(0)
	s_barrier
	s_and_saveexec_b64 s[0:1], vcc
	s_cbranch_execz .LBB1_58
; %bb.52:
	s_load_dwordx2 s[0:1], s[4:5], 0x20
	s_lshl_b32 s6, s38, 2
	s_mov_b64 s[2:3], 0
	v_mov_b32_e32 v1, 0
	s_branch .LBB1_54
.LBB1_53:                               ;   in Loop: Header=BB1_54 Depth=1
	s_or_b64 exec, exec, s[4:5]
	v_add_u32_e32 v0, 0x100, v0
	v_cmp_le_u32_e32 vcc, s38, v0
	s_or_b64 s[2:3], vcc, s[2:3]
	v_add_u32_e32 v10, 0x400, v10
	s_andn2_b64 exec, exec, s[2:3]
	s_cbranch_execz .LBB1_58
.LBB1_54:                               ; =>This Loop Header: Depth=1
                                        ;     Child Loop BB1_55 Depth 2
	v_mov_b32_e32 v3, v10
	s_mov_b32 s4, s33
	v_mov_b32_e32 v2, 0
.LBB1_55:                               ;   Parent Loop BB1_54 Depth=1
                                        ; =>  This Inner Loop Header: Depth=2
	ds_read_b32 v4, v3
	s_add_i32 s4, s4, -1
	v_add_u32_e32 v3, s6, v3
	s_cmp_eq_u32 s4, 0
	s_waitcnt lgkmcnt(0)
	v_add_u32_e32 v2, v4, v2
	s_cbranch_scc0 .LBB1_55
; %bb.56:                               ;   in Loop: Header=BB1_54 Depth=1
	v_cmp_ne_u32_e32 vcc, 0, v2
	s_and_saveexec_b64 s[4:5], vcc
	s_cbranch_execz .LBB1_53
; %bb.57:                               ;   in Loop: Header=BB1_54 Depth=1
	v_lshlrev_b64 v[3:4], 3, v[0:1]
	v_mov_b32_e32 v6, s1
	v_add_co_u32_e32 v5, vcc, s0, v3
	v_addc_co_u32_e32 v6, vcc, v6, v4, vcc
	v_mov_b32_e32 v3, v1
	global_atomic_add_x2 v[5:6], v[2:3], off
	s_branch .LBB1_53
.LBB1_58:
	s_endpgm
	.section	.rodata,"a",@progbits
	.p2align	6, 0x0
	.amdhsa_kernel _ZN7rocprim6detail23histogram_shared_kernelINS0_24wrapped_histogram_configINS_14default_configElLj1ELj1EEELj1ELj1EPlyNS0_18sample_to_bin_evenIlvEEEEvT2_jjjjjNS0_11fixed_arrayIPT3_XT1_EEENS9_IT4_XT1_EEENS9_IjXT1_EEE
		.amdhsa_group_segment_fixed_size 0
		.amdhsa_private_segment_fixed_size 0
		.amdhsa_kernarg_size 336
		.amdhsa_user_sgpr_count 6
		.amdhsa_user_sgpr_private_segment_buffer 1
		.amdhsa_user_sgpr_dispatch_ptr 0
		.amdhsa_user_sgpr_queue_ptr 0
		.amdhsa_user_sgpr_kernarg_segment_ptr 1
		.amdhsa_user_sgpr_dispatch_id 0
		.amdhsa_user_sgpr_flat_scratch_init 0
		.amdhsa_user_sgpr_private_segment_size 0
		.amdhsa_uses_dynamic_stack 0
		.amdhsa_system_sgpr_private_segment_wavefront_offset 0
		.amdhsa_system_sgpr_workgroup_id_x 1
		.amdhsa_system_sgpr_workgroup_id_y 1
		.amdhsa_system_sgpr_workgroup_id_z 0
		.amdhsa_system_sgpr_workgroup_info 0
		.amdhsa_system_vgpr_workitem_id 0
		.amdhsa_next_free_vgpr 23
		.amdhsa_next_free_sgpr 50
		.amdhsa_reserve_vcc 1
		.amdhsa_reserve_flat_scratch 0
		.amdhsa_float_round_mode_32 0
		.amdhsa_float_round_mode_16_64 0
		.amdhsa_float_denorm_mode_32 3
		.amdhsa_float_denorm_mode_16_64 3
		.amdhsa_dx10_clamp 1
		.amdhsa_ieee_mode 1
		.amdhsa_fp16_overflow 0
		.amdhsa_exception_fp_ieee_invalid_op 0
		.amdhsa_exception_fp_denorm_src 0
		.amdhsa_exception_fp_ieee_div_zero 0
		.amdhsa_exception_fp_ieee_overflow 0
		.amdhsa_exception_fp_ieee_underflow 0
		.amdhsa_exception_fp_ieee_inexact 0
		.amdhsa_exception_int_div_zero 0
	.end_amdhsa_kernel
	.section	.text._ZN7rocprim6detail23histogram_shared_kernelINS0_24wrapped_histogram_configINS_14default_configElLj1ELj1EEELj1ELj1EPlyNS0_18sample_to_bin_evenIlvEEEEvT2_jjjjjNS0_11fixed_arrayIPT3_XT1_EEENS9_IT4_XT1_EEENS9_IjXT1_EEE,"axG",@progbits,_ZN7rocprim6detail23histogram_shared_kernelINS0_24wrapped_histogram_configINS_14default_configElLj1ELj1EEELj1ELj1EPlyNS0_18sample_to_bin_evenIlvEEEEvT2_jjjjjNS0_11fixed_arrayIPT3_XT1_EEENS9_IT4_XT1_EEENS9_IjXT1_EEE,comdat
.Lfunc_end1:
	.size	_ZN7rocprim6detail23histogram_shared_kernelINS0_24wrapped_histogram_configINS_14default_configElLj1ELj1EEELj1ELj1EPlyNS0_18sample_to_bin_evenIlvEEEEvT2_jjjjjNS0_11fixed_arrayIPT3_XT1_EEENS9_IT4_XT1_EEENS9_IjXT1_EEE, .Lfunc_end1-_ZN7rocprim6detail23histogram_shared_kernelINS0_24wrapped_histogram_configINS_14default_configElLj1ELj1EEELj1ELj1EPlyNS0_18sample_to_bin_evenIlvEEEEvT2_jjjjjNS0_11fixed_arrayIPT3_XT1_EEENS9_IT4_XT1_EEENS9_IjXT1_EEE
                                        ; -- End function
	.set _ZN7rocprim6detail23histogram_shared_kernelINS0_24wrapped_histogram_configINS_14default_configElLj1ELj1EEELj1ELj1EPlyNS0_18sample_to_bin_evenIlvEEEEvT2_jjjjjNS0_11fixed_arrayIPT3_XT1_EEENS9_IT4_XT1_EEENS9_IjXT1_EEE.num_vgpr, 23
	.set _ZN7rocprim6detail23histogram_shared_kernelINS0_24wrapped_histogram_configINS_14default_configElLj1ELj1EEELj1ELj1EPlyNS0_18sample_to_bin_evenIlvEEEEvT2_jjjjjNS0_11fixed_arrayIPT3_XT1_EEENS9_IT4_XT1_EEENS9_IjXT1_EEE.num_agpr, 0
	.set _ZN7rocprim6detail23histogram_shared_kernelINS0_24wrapped_histogram_configINS_14default_configElLj1ELj1EEELj1ELj1EPlyNS0_18sample_to_bin_evenIlvEEEEvT2_jjjjjNS0_11fixed_arrayIPT3_XT1_EEENS9_IT4_XT1_EEENS9_IjXT1_EEE.numbered_sgpr, 50
	.set _ZN7rocprim6detail23histogram_shared_kernelINS0_24wrapped_histogram_configINS_14default_configElLj1ELj1EEELj1ELj1EPlyNS0_18sample_to_bin_evenIlvEEEEvT2_jjjjjNS0_11fixed_arrayIPT3_XT1_EEENS9_IT4_XT1_EEENS9_IjXT1_EEE.num_named_barrier, 0
	.set _ZN7rocprim6detail23histogram_shared_kernelINS0_24wrapped_histogram_configINS_14default_configElLj1ELj1EEELj1ELj1EPlyNS0_18sample_to_bin_evenIlvEEEEvT2_jjjjjNS0_11fixed_arrayIPT3_XT1_EEENS9_IT4_XT1_EEENS9_IjXT1_EEE.private_seg_size, 0
	.set _ZN7rocprim6detail23histogram_shared_kernelINS0_24wrapped_histogram_configINS_14default_configElLj1ELj1EEELj1ELj1EPlyNS0_18sample_to_bin_evenIlvEEEEvT2_jjjjjNS0_11fixed_arrayIPT3_XT1_EEENS9_IT4_XT1_EEENS9_IjXT1_EEE.uses_vcc, 1
	.set _ZN7rocprim6detail23histogram_shared_kernelINS0_24wrapped_histogram_configINS_14default_configElLj1ELj1EEELj1ELj1EPlyNS0_18sample_to_bin_evenIlvEEEEvT2_jjjjjNS0_11fixed_arrayIPT3_XT1_EEENS9_IT4_XT1_EEENS9_IjXT1_EEE.uses_flat_scratch, 0
	.set _ZN7rocprim6detail23histogram_shared_kernelINS0_24wrapped_histogram_configINS_14default_configElLj1ELj1EEELj1ELj1EPlyNS0_18sample_to_bin_evenIlvEEEEvT2_jjjjjNS0_11fixed_arrayIPT3_XT1_EEENS9_IT4_XT1_EEENS9_IjXT1_EEE.has_dyn_sized_stack, 0
	.set _ZN7rocprim6detail23histogram_shared_kernelINS0_24wrapped_histogram_configINS_14default_configElLj1ELj1EEELj1ELj1EPlyNS0_18sample_to_bin_evenIlvEEEEvT2_jjjjjNS0_11fixed_arrayIPT3_XT1_EEENS9_IT4_XT1_EEENS9_IjXT1_EEE.has_recursion, 0
	.set _ZN7rocprim6detail23histogram_shared_kernelINS0_24wrapped_histogram_configINS_14default_configElLj1ELj1EEELj1ELj1EPlyNS0_18sample_to_bin_evenIlvEEEEvT2_jjjjjNS0_11fixed_arrayIPT3_XT1_EEENS9_IT4_XT1_EEENS9_IjXT1_EEE.has_indirect_call, 0
	.section	.AMDGPU.csdata,"",@progbits
; Kernel info:
; codeLenInByte = 3872
; TotalNumSgprs: 54
; NumVgprs: 23
; ScratchSize: 0
; MemoryBound: 1
; FloatMode: 240
; IeeeMode: 1
; LDSByteSize: 0 bytes/workgroup (compile time only)
; SGPRBlocks: 6
; VGPRBlocks: 5
; NumSGPRsForWavesPerEU: 54
; NumVGPRsForWavesPerEU: 23
; Occupancy: 10
; WaveLimiterHint : 1
; COMPUTE_PGM_RSRC2:SCRATCH_EN: 0
; COMPUTE_PGM_RSRC2:USER_SGPR: 6
; COMPUTE_PGM_RSRC2:TRAP_HANDLER: 0
; COMPUTE_PGM_RSRC2:TGID_X_EN: 1
; COMPUTE_PGM_RSRC2:TGID_Y_EN: 1
; COMPUTE_PGM_RSRC2:TGID_Z_EN: 0
; COMPUTE_PGM_RSRC2:TIDIG_COMP_CNT: 0
	.section	.text._ZN7rocprim6detail23histogram_global_kernelINS0_24wrapped_histogram_configINS_14default_configElLj1ELj1EEELj1ELj1EPlyNS0_18sample_to_bin_evenIlvEEEEvT2_jjNS0_11fixed_arrayIPT3_XT1_EEENS9_IT4_XT1_EEENS9_IjXT1_EEE,"axG",@progbits,_ZN7rocprim6detail23histogram_global_kernelINS0_24wrapped_histogram_configINS_14default_configElLj1ELj1EEELj1ELj1EPlyNS0_18sample_to_bin_evenIlvEEEEvT2_jjNS0_11fixed_arrayIPT3_XT1_EEENS9_IT4_XT1_EEENS9_IjXT1_EEE,comdat
	.protected	_ZN7rocprim6detail23histogram_global_kernelINS0_24wrapped_histogram_configINS_14default_configElLj1ELj1EEELj1ELj1EPlyNS0_18sample_to_bin_evenIlvEEEEvT2_jjNS0_11fixed_arrayIPT3_XT1_EEENS9_IT4_XT1_EEENS9_IjXT1_EEE ; -- Begin function _ZN7rocprim6detail23histogram_global_kernelINS0_24wrapped_histogram_configINS_14default_configElLj1ELj1EEELj1ELj1EPlyNS0_18sample_to_bin_evenIlvEEEEvT2_jjNS0_11fixed_arrayIPT3_XT1_EEENS9_IT4_XT1_EEENS9_IjXT1_EEE
	.globl	_ZN7rocprim6detail23histogram_global_kernelINS0_24wrapped_histogram_configINS_14default_configElLj1ELj1EEELj1ELj1EPlyNS0_18sample_to_bin_evenIlvEEEEvT2_jjNS0_11fixed_arrayIPT3_XT1_EEENS9_IT4_XT1_EEENS9_IjXT1_EEE
	.p2align	8
	.type	_ZN7rocprim6detail23histogram_global_kernelINS0_24wrapped_histogram_configINS_14default_configElLj1ELj1EEELj1ELj1EPlyNS0_18sample_to_bin_evenIlvEEEEvT2_jjNS0_11fixed_arrayIPT3_XT1_EEENS9_IT4_XT1_EEENS9_IjXT1_EEE,@function
_ZN7rocprim6detail23histogram_global_kernelINS0_24wrapped_histogram_configINS_14default_configElLj1ELj1EEELj1ELj1EPlyNS0_18sample_to_bin_evenIlvEEEEvT2_jjNS0_11fixed_arrayIPT3_XT1_EEENS9_IT4_XT1_EEENS9_IjXT1_EEE: ; @_ZN7rocprim6detail23histogram_global_kernelINS0_24wrapped_histogram_configINS_14default_configElLj1ELj1EEELj1ELj1EPlyNS0_18sample_to_bin_evenIlvEEEEvT2_jjNS0_11fixed_arrayIPT3_XT1_EEENS9_IT4_XT1_EEENS9_IjXT1_EEE
; %bb.0:
	s_load_dwordx4 s[0:3], s[4:5], 0x0
	s_load_dwordx4 s[8:11], s[4:5], 0x20
	s_load_dwordx2 s[12:13], s[4:5], 0x30
	s_lshl_b32 s14, s6, 9
	s_movk_i32 s20, 0x200
	s_waitcnt lgkmcnt(0)
	s_mul_i32 s3, s3, s7
	s_add_i32 s6, s3, s14
	s_mov_b32 s7, 0
	s_lshl_b64 s[6:7], s[6:7], 3
	s_add_u32 s0, s0, s6
	s_addc_u32 s1, s1, s7
	s_add_i32 s3, s14, 0x200
	s_cmp_gt_u32 s3, s2
	v_lshlrev_b32_e32 v8, 1, v0
	s_cbranch_scc1 .LBB2_2
; %bb.1:
	v_lshlrev_b32_e32 v5, 3, v0
	global_load_dwordx2 v[1:2], v5, s[0:1]
	global_load_dwordx2 v[3:4], v5, s[0:1] offset:2048
	v_lshlrev_b32_e32 v7, 1, v0
	s_cbranch_execz .LBB2_3
	s_branch .LBB2_8
.LBB2_2:
                                        ; implicit-def: $vgpr1_vgpr2
                                        ; implicit-def: $vgpr7
.LBB2_3:
	v_lshlrev_b32_e32 v0, 4, v0
	s_waitcnt vmcnt(1)
	v_mov_b32_e32 v2, s1
	v_add_co_u32_e32 v5, vcc, s0, v0
	s_sub_i32 s20, s2, s14
	v_mov_b32_e32 v1, 0
	v_addc_co_u32_e32 v6, vcc, 0, v2, vcc
	v_cmp_gt_u32_e32 vcc, s20, v8
	v_mov_b32_e32 v2, v1
	s_waitcnt vmcnt(0)
	v_mov_b32_e32 v3, v1
	v_mov_b32_e32 v4, v1
	s_and_saveexec_b64 s[0:1], vcc
	s_cbranch_execz .LBB2_5
; %bb.4:
	global_load_dwordx2 v[9:10], v[5:6], off
	v_mov_b32_e32 v11, v1
	v_mov_b32_e32 v12, v1
	s_waitcnt vmcnt(0)
	v_mov_b32_e32 v1, v9
	v_mov_b32_e32 v2, v10
	;; [unrolled: 1-line block ×4, first 2 shown]
.LBB2_5:
	s_or_b64 exec, exec, s[0:1]
	v_or_b32_e32 v0, 1, v8
	v_cmp_gt_u32_e32 vcc, s20, v0
	s_and_saveexec_b64 s[0:1], vcc
	s_cbranch_execz .LBB2_7
; %bb.6:
	global_load_dwordx2 v[3:4], v[5:6], off offset:8
.LBB2_7:
	s_or_b64 exec, exec, s[0:1]
	v_mov_b32_e32 v7, v8
.LBB2_8:
	s_load_dword s21, s[4:5], 0x38
	s_load_dwordx2 s[2:3], s[4:5], 0x10
	s_waitcnt vmcnt(1)
	v_cmp_le_i64_e32 vcc, s[8:9], v[1:2]
	v_cmp_gt_i64_e64 s[0:1], s[10:11], v[1:2]
	s_waitcnt lgkmcnt(0)
	s_cmp_lg_u32 s21, 0
	s_cselect_b64 s[4:5], -1, 0
	s_and_b64 s[0:1], vcc, s[0:1]
	s_and_saveexec_b64 s[6:7], s[0:1]
	s_cbranch_execz .LBB2_18
; %bb.9:
	v_mov_b32_e32 v0, s9
	v_subrev_co_u32_e32 v5, vcc, s8, v1
	v_subb_co_u32_e32 v2, vcc, v2, v0, vcc
	v_or_b32_e32 v1, s13, v2
	v_mov_b32_e32 v0, 0
	v_cmp_ne_u64_e32 vcc, 0, v[0:1]
                                        ; implicit-def: $vgpr0_vgpr1
	s_and_saveexec_b64 s[0:1], vcc
	s_xor_b64 s[14:15], exec, s[0:1]
	s_cbranch_execz .LBB2_11
; %bb.10:
	s_ashr_i32 s16, s13, 31
	s_add_u32 s0, s12, s16
	s_mov_b32 s17, s16
	s_addc_u32 s1, s13, s16
	s_xor_b64 s[18:19], s[0:1], s[16:17]
	v_cvt_f32_u32_e32 v0, s18
	v_cvt_f32_u32_e32 v1, s19
	s_sub_u32 s17, 0, s18
	s_subb_u32 s22, 0, s19
	v_ashrrev_i32_e32 v8, 31, v2
	v_madmk_f32 v0, v1, 0x4f800000, v0
	v_rcp_f32_e32 v0, v0
	v_mul_f32_e32 v0, 0x5f7ffffc, v0
	v_mul_f32_e32 v1, 0x2f800000, v0
	v_trunc_f32_e32 v1, v1
	v_madmk_f32 v0, v1, 0xcf800000, v0
	v_cvt_u32_f32_e32 v1, v1
	v_cvt_u32_f32_e32 v0, v0
	v_readfirstlane_b32 s23, v1
	v_readfirstlane_b32 s0, v0
	s_mul_i32 s1, s17, s23
	s_mul_hi_u32 s25, s17, s0
	s_mul_i32 s24, s22, s0
	s_add_i32 s1, s25, s1
	s_add_i32 s1, s1, s24
	s_mul_i32 s26, s17, s0
	s_mul_i32 s25, s0, s1
	s_mul_hi_u32 s27, s0, s26
	s_mul_hi_u32 s24, s0, s1
	s_add_u32 s25, s27, s25
	s_addc_u32 s24, 0, s24
	s_mul_hi_u32 s28, s23, s26
	s_mul_i32 s26, s23, s26
	s_add_u32 s25, s25, s26
	s_mul_hi_u32 s27, s23, s1
	s_addc_u32 s24, s24, s28
	s_addc_u32 s25, s27, 0
	s_mul_i32 s1, s23, s1
	s_add_u32 s1, s24, s1
	s_addc_u32 s24, 0, s25
	s_add_u32 s25, s0, s1
	s_cselect_b64 s[0:1], -1, 0
	s_cmp_lg_u64 s[0:1], 0
	s_addc_u32 s23, s23, s24
	s_mul_i32 s0, s17, s23
	s_mul_hi_u32 s1, s17, s25
	s_add_i32 s0, s1, s0
	s_mul_i32 s22, s22, s25
	s_add_i32 s0, s0, s22
	s_mul_i32 s17, s17, s25
	s_mul_hi_u32 s22, s23, s17
	s_mul_i32 s24, s23, s17
	s_mul_i32 s27, s25, s0
	s_mul_hi_u32 s17, s25, s17
	s_mul_hi_u32 s26, s25, s0
	s_add_u32 s17, s17, s27
	s_addc_u32 s26, 0, s26
	s_add_u32 s17, s17, s24
	s_mul_hi_u32 s1, s23, s0
	s_addc_u32 s17, s26, s22
	s_addc_u32 s1, s1, 0
	s_mul_i32 s0, s23, s0
	s_add_u32 s0, s17, s0
	s_addc_u32 s17, 0, s1
	s_add_u32 s22, s25, s0
	s_cselect_b64 s[0:1], -1, 0
	s_cmp_lg_u64 s[0:1], 0
	v_add_co_u32_e32 v0, vcc, v5, v8
	s_addc_u32 s17, s23, s17
	v_xor_b32_e32 v9, v0, v8
	v_mad_u64_u32 v[0:1], s[0:1], v9, s17, 0
	v_mul_hi_u32 v5, v9, s22
	v_addc_co_u32_e32 v2, vcc, v2, v8, vcc
	v_xor_b32_e32 v2, v2, v8
	v_add_co_u32_e32 v10, vcc, v5, v0
	v_addc_co_u32_e32 v11, vcc, 0, v1, vcc
	v_mad_u64_u32 v[0:1], s[0:1], v2, s22, 0
	v_mad_u64_u32 v[5:6], s[0:1], v2, s17, 0
	v_add_co_u32_e32 v0, vcc, v10, v0
	v_addc_co_u32_e32 v0, vcc, v11, v1, vcc
	v_addc_co_u32_e32 v1, vcc, 0, v6, vcc
	v_add_co_u32_e32 v5, vcc, v0, v5
	v_addc_co_u32_e32 v0, vcc, 0, v1, vcc
	v_mul_lo_u32 v6, s19, v5
	v_mul_lo_u32 v10, s18, v0
	v_mad_u64_u32 v[0:1], s[0:1], s18, v5, 0
	v_add3_u32 v1, v1, v10, v6
	v_sub_u32_e32 v6, v2, v1
	v_mov_b32_e32 v10, s19
	v_sub_co_u32_e32 v0, vcc, v9, v0
	v_subb_co_u32_e64 v6, s[0:1], v6, v10, vcc
	v_subrev_co_u32_e64 v9, s[0:1], s18, v0
	v_subbrev_co_u32_e64 v6, s[0:1], 0, v6, s[0:1]
	v_cmp_le_u32_e64 s[0:1], s19, v6
	v_subb_co_u32_e32 v1, vcc, v2, v1, vcc
	v_cndmask_b32_e64 v10, 0, -1, s[0:1]
	v_cmp_le_u32_e64 s[0:1], s18, v9
	v_cmp_le_u32_e32 vcc, s19, v1
	v_cndmask_b32_e64 v9, 0, -1, s[0:1]
	v_cmp_eq_u32_e64 s[0:1], s19, v6
	v_cndmask_b32_e64 v2, 0, -1, vcc
	v_cmp_le_u32_e32 vcc, s18, v0
	v_cndmask_b32_e64 v6, v10, v9, s[0:1]
	v_cndmask_b32_e64 v0, 0, -1, vcc
	v_cmp_eq_u32_e32 vcc, s19, v1
	v_add_co_u32_e64 v9, s[0:1], 2, v5
	v_add_co_u32_e64 v10, s[0:1], 1, v5
	v_cndmask_b32_e32 v0, v2, v0, vcc
	v_cmp_ne_u32_e32 vcc, 0, v6
	v_cndmask_b32_e32 v1, v10, v9, vcc
	v_cmp_ne_u32_e32 vcc, 0, v0
	v_cndmask_b32_e32 v0, v5, v1, vcc
	v_xor_b32_e32 v1, s16, v8
	v_xor_b32_e32 v0, v0, v1
	v_sub_co_u32_e32 v0, vcc, v0, v1
                                        ; implicit-def: $vgpr5
.LBB2_11:
	s_andn2_saveexec_b64 s[0:1], s[14:15]
	s_cbranch_execz .LBB2_13
; %bb.12:
	v_cvt_f32_u32_e32 v0, s12
	s_sub_i32 s14, 0, s12
	v_rcp_iflag_f32_e32 v0, v0
	v_mul_f32_e32 v0, 0x4f7ffffe, v0
	v_cvt_u32_f32_e32 v0, v0
	v_mul_lo_u32 v1, s14, v0
	v_mul_hi_u32 v1, v0, v1
	v_add_u32_e32 v0, v0, v1
	v_mul_hi_u32 v0, v5, v0
	v_mul_lo_u32 v1, v0, s12
	v_add_u32_e32 v2, 1, v0
	v_sub_u32_e32 v1, v5, v1
	v_subrev_u32_e32 v5, s12, v1
	v_cmp_le_u32_e32 vcc, s12, v1
	v_cndmask_b32_e32 v1, v1, v5, vcc
	v_cndmask_b32_e32 v0, v0, v2, vcc
	v_add_u32_e32 v2, 1, v0
	v_cmp_le_u32_e32 vcc, s12, v1
	v_cndmask_b32_e32 v0, v0, v2, vcc
.LBB2_13:
	s_or_b64 exec, exec, s[0:1]
	v_cmp_gt_u32_e64 s[0:1], s20, v7
	v_mov_b32_e32 v6, s1
	s_andn2_b64 vcc, exec, s[4:5]
	v_mov_b32_e32 v5, s0
	s_cbranch_vccnz .LBB2_16
; %bb.14:
	v_mov_b32_e32 v6, s1
	s_mov_b32 s14, 0
	v_mov_b32_e32 v1, 0
	s_sub_i32 s15, 0, s21
	v_mov_b32_e32 v5, s0
.LBB2_15:                               ; =>This Inner Loop Header: Depth=1
	s_add_i32 s16, s14, 63
	v_lshlrev_b64 v[8:9], s16, v[0:1]
	s_add_i32 s14, s14, -1
	v_cmp_gt_i64_e32 vcc, 0, v[8:9]
	v_not_b32_e32 v2, v9
	v_ashrrev_i32_e32 v2, 31, v2
	v_xor_b32_e32 v8, vcc_hi, v2
	v_xor_b32_e32 v2, vcc_lo, v2
	s_cmp_lg_u32 s15, s14
	v_and_b32_e32 v6, v8, v6
	v_and_b32_e32 v5, v2, v5
	s_cbranch_scc1 .LBB2_15
.LBB2_16:
	v_cndmask_b32_e64 v5, 0, v5, s[0:1]
	v_cndmask_b32_e64 v6, 0, v6, s[0:1]
	v_mbcnt_lo_u32_b32 v1, v5, 0
	v_mbcnt_hi_u32_b32 v1, v6, v1
	v_cmp_ne_u64_e32 vcc, 0, v[5:6]
	v_cmp_eq_u32_e64 s[0:1], 0, v1
	s_and_b64 s[0:1], vcc, s[0:1]
	s_and_b64 exec, exec, s[0:1]
	s_cbranch_execz .LBB2_18
; %bb.17:
	v_mov_b32_e32 v1, 0
	v_lshlrev_b64 v[8:9], 3, v[0:1]
	v_mov_b32_e32 v0, s3
	v_add_co_u32_e32 v8, vcc, s2, v8
	v_addc_co_u32_e32 v9, vcc, v0, v9, vcc
	v_bcnt_u32_b32 v0, v5, 0
	v_bcnt_u32_b32 v0, v6, v0
	global_atomic_add_x2 v[8:9], v[0:1], off
.LBB2_18:
	s_or_b64 exec, exec, s[6:7]
	s_waitcnt vmcnt(0)
	v_cmp_le_i64_e32 vcc, s[8:9], v[3:4]
	v_cmp_gt_i64_e64 s[0:1], s[10:11], v[3:4]
	s_and_b64 s[0:1], vcc, s[0:1]
	s_and_saveexec_b64 s[6:7], s[0:1]
	s_cbranch_execz .LBB2_28
; %bb.19:
	v_mov_b32_e32 v0, s9
	v_subrev_co_u32_e32 v2, vcc, s8, v3
	v_subb_co_u32_e32 v3, vcc, v4, v0, vcc
	v_or_b32_e32 v1, s13, v3
	v_mov_b32_e32 v0, 0
	v_cmp_ne_u64_e32 vcc, 0, v[0:1]
                                        ; implicit-def: $vgpr0_vgpr1
	s_and_saveexec_b64 s[0:1], vcc
	s_xor_b64 s[6:7], exec, s[0:1]
	s_cbranch_execz .LBB2_21
; %bb.20:
	s_ashr_i32 s8, s13, 31
	s_add_u32 s0, s12, s8
	s_mov_b32 s9, s8
	s_addc_u32 s1, s13, s8
	s_xor_b64 s[10:11], s[0:1], s[8:9]
	v_cvt_f32_u32_e32 v0, s10
	v_cvt_f32_u32_e32 v1, s11
	s_sub_u32 s9, 0, s10
	s_subb_u32 s13, 0, s11
	v_ashrrev_i32_e32 v4, 31, v3
	v_madmk_f32 v0, v1, 0x4f800000, v0
	v_rcp_f32_e32 v0, v0
	v_mul_f32_e32 v0, 0x5f7ffffc, v0
	v_mul_f32_e32 v1, 0x2f800000, v0
	v_trunc_f32_e32 v1, v1
	v_madmk_f32 v0, v1, 0xcf800000, v0
	v_cvt_u32_f32_e32 v1, v1
	v_cvt_u32_f32_e32 v0, v0
	v_readfirstlane_b32 s14, v1
	v_readfirstlane_b32 s0, v0
	s_mul_i32 s1, s9, s14
	s_mul_hi_u32 s16, s9, s0
	s_mul_i32 s15, s13, s0
	s_add_i32 s1, s16, s1
	s_add_i32 s1, s1, s15
	s_mul_i32 s17, s9, s0
	s_mul_i32 s16, s0, s1
	s_mul_hi_u32 s18, s0, s17
	s_mul_hi_u32 s15, s0, s1
	s_add_u32 s16, s18, s16
	s_addc_u32 s15, 0, s15
	s_mul_hi_u32 s19, s14, s17
	s_mul_i32 s17, s14, s17
	s_add_u32 s16, s16, s17
	s_mul_hi_u32 s18, s14, s1
	s_addc_u32 s15, s15, s19
	s_addc_u32 s16, s18, 0
	s_mul_i32 s1, s14, s1
	s_add_u32 s1, s15, s1
	s_addc_u32 s15, 0, s16
	s_add_u32 s16, s0, s1
	s_cselect_b64 s[0:1], -1, 0
	s_cmp_lg_u64 s[0:1], 0
	s_addc_u32 s14, s14, s15
	s_mul_i32 s0, s9, s14
	s_mul_hi_u32 s1, s9, s16
	s_add_i32 s0, s1, s0
	s_mul_i32 s13, s13, s16
	s_add_i32 s0, s0, s13
	s_mul_i32 s9, s9, s16
	s_mul_hi_u32 s13, s14, s9
	s_mul_i32 s15, s14, s9
	s_mul_i32 s18, s16, s0
	s_mul_hi_u32 s9, s16, s9
	s_mul_hi_u32 s17, s16, s0
	s_add_u32 s9, s9, s18
	s_addc_u32 s17, 0, s17
	s_add_u32 s9, s9, s15
	s_mul_hi_u32 s1, s14, s0
	s_addc_u32 s9, s17, s13
	s_addc_u32 s1, s1, 0
	s_mul_i32 s0, s14, s0
	s_add_u32 s0, s9, s0
	s_addc_u32 s9, 0, s1
	s_add_u32 s13, s16, s0
	s_cselect_b64 s[0:1], -1, 0
	s_cmp_lg_u64 s[0:1], 0
	v_add_co_u32_e32 v0, vcc, v2, v4
	s_addc_u32 s9, s14, s9
	v_xor_b32_e32 v5, v0, v4
	v_addc_co_u32_e32 v2, vcc, v3, v4, vcc
	v_mad_u64_u32 v[0:1], s[0:1], v5, s9, 0
	v_mul_hi_u32 v3, v5, s13
	v_xor_b32_e32 v6, v2, v4
	v_add_co_u32_e32 v8, vcc, v3, v0
	v_addc_co_u32_e32 v9, vcc, 0, v1, vcc
	v_mad_u64_u32 v[0:1], s[0:1], v6, s13, 0
	v_mad_u64_u32 v[2:3], s[0:1], v6, s9, 0
	v_add_co_u32_e32 v0, vcc, v8, v0
	v_addc_co_u32_e32 v0, vcc, v9, v1, vcc
	v_addc_co_u32_e32 v1, vcc, 0, v3, vcc
	v_add_co_u32_e32 v2, vcc, v0, v2
	v_addc_co_u32_e32 v0, vcc, 0, v1, vcc
	v_mul_lo_u32 v3, s11, v2
	v_mul_lo_u32 v8, s10, v0
	v_mad_u64_u32 v[0:1], s[0:1], s10, v2, 0
	v_add3_u32 v1, v1, v8, v3
	v_sub_u32_e32 v3, v6, v1
	v_mov_b32_e32 v8, s11
	v_sub_co_u32_e32 v0, vcc, v5, v0
	v_subb_co_u32_e64 v3, s[0:1], v3, v8, vcc
	v_subrev_co_u32_e64 v5, s[0:1], s10, v0
	v_subbrev_co_u32_e64 v3, s[0:1], 0, v3, s[0:1]
	v_cmp_le_u32_e64 s[0:1], s11, v3
	v_subb_co_u32_e32 v1, vcc, v6, v1, vcc
	v_cndmask_b32_e64 v8, 0, -1, s[0:1]
	v_cmp_le_u32_e64 s[0:1], s10, v5
	v_cmp_le_u32_e32 vcc, s11, v1
	v_cndmask_b32_e64 v5, 0, -1, s[0:1]
	v_cmp_eq_u32_e64 s[0:1], s11, v3
	v_cndmask_b32_e64 v6, 0, -1, vcc
	v_cmp_le_u32_e32 vcc, s10, v0
	v_cndmask_b32_e64 v3, v8, v5, s[0:1]
	v_cndmask_b32_e64 v0, 0, -1, vcc
	v_cmp_eq_u32_e32 vcc, s11, v1
	v_add_co_u32_e64 v5, s[0:1], 2, v2
	v_add_co_u32_e64 v8, s[0:1], 1, v2
	v_cndmask_b32_e32 v0, v6, v0, vcc
	v_cmp_ne_u32_e32 vcc, 0, v3
	v_cndmask_b32_e32 v1, v8, v5, vcc
	v_cmp_ne_u32_e32 vcc, 0, v0
	v_cndmask_b32_e32 v0, v2, v1, vcc
	v_xor_b32_e32 v1, s8, v4
	v_xor_b32_e32 v0, v0, v1
	v_sub_co_u32_e32 v0, vcc, v0, v1
                                        ; implicit-def: $vgpr2
.LBB2_21:
	s_andn2_saveexec_b64 s[0:1], s[6:7]
	s_cbranch_execz .LBB2_23
; %bb.22:
	v_cvt_f32_u32_e32 v0, s12
	s_sub_i32 s6, 0, s12
	v_rcp_iflag_f32_e32 v0, v0
	v_mul_f32_e32 v0, 0x4f7ffffe, v0
	v_cvt_u32_f32_e32 v0, v0
	v_mul_lo_u32 v1, s6, v0
	v_mul_hi_u32 v1, v0, v1
	v_add_u32_e32 v0, v0, v1
	v_mul_hi_u32 v0, v2, v0
	v_mul_lo_u32 v1, v0, s12
	v_add_u32_e32 v3, 1, v0
	v_sub_u32_e32 v1, v2, v1
	v_subrev_u32_e32 v2, s12, v1
	v_cmp_le_u32_e32 vcc, s12, v1
	v_cndmask_b32_e32 v1, v1, v2, vcc
	v_cndmask_b32_e32 v0, v0, v3, vcc
	v_add_u32_e32 v2, 1, v0
	v_cmp_le_u32_e32 vcc, s12, v1
	v_cndmask_b32_e32 v0, v0, v2, vcc
.LBB2_23:
	s_or_b64 exec, exec, s[0:1]
	v_or_b32_e32 v1, 1, v7
	v_cmp_gt_u32_e64 s[0:1], s20, v1
	v_mov_b32_e32 v3, s1
	s_andn2_b64 vcc, exec, s[4:5]
	v_mov_b32_e32 v2, s0
	s_cbranch_vccnz .LBB2_26
; %bb.24:
	v_mov_b32_e32 v3, s1
	s_mov_b32 s4, 0
	v_mov_b32_e32 v1, 0
	s_sub_i32 s5, 0, s21
	v_mov_b32_e32 v2, s0
.LBB2_25:                               ; =>This Inner Loop Header: Depth=1
	s_add_i32 s6, s4, 63
	v_lshlrev_b64 v[4:5], s6, v[0:1]
	s_add_i32 s4, s4, -1
	v_cmp_gt_i64_e32 vcc, 0, v[4:5]
	v_not_b32_e32 v4, v5
	v_ashrrev_i32_e32 v4, 31, v4
	v_xor_b32_e32 v5, vcc_hi, v4
	v_xor_b32_e32 v4, vcc_lo, v4
	s_cmp_lg_u32 s5, s4
	v_and_b32_e32 v3, v5, v3
	v_and_b32_e32 v2, v4, v2
	s_cbranch_scc1 .LBB2_25
.LBB2_26:
	v_cndmask_b32_e64 v2, 0, v2, s[0:1]
	v_cndmask_b32_e64 v3, 0, v3, s[0:1]
	v_mbcnt_lo_u32_b32 v1, v2, 0
	v_mbcnt_hi_u32_b32 v1, v3, v1
	v_cmp_ne_u64_e32 vcc, 0, v[2:3]
	v_cmp_eq_u32_e64 s[0:1], 0, v1
	s_and_b64 s[0:1], vcc, s[0:1]
	s_and_b64 exec, exec, s[0:1]
	s_cbranch_execz .LBB2_28
; %bb.27:
	v_mov_b32_e32 v1, 0
	v_lshlrev_b64 v[4:5], 3, v[0:1]
	v_mov_b32_e32 v0, s3
	v_add_co_u32_e32 v4, vcc, s2, v4
	v_addc_co_u32_e32 v5, vcc, v0, v5, vcc
	v_bcnt_u32_b32 v0, v2, 0
	v_bcnt_u32_b32 v0, v3, v0
	global_atomic_add_x2 v[4:5], v[0:1], off
.LBB2_28:
	s_endpgm
	.section	.rodata,"a",@progbits
	.p2align	6, 0x0
	.amdhsa_kernel _ZN7rocprim6detail23histogram_global_kernelINS0_24wrapped_histogram_configINS_14default_configElLj1ELj1EEELj1ELj1EPlyNS0_18sample_to_bin_evenIlvEEEEvT2_jjNS0_11fixed_arrayIPT3_XT1_EEENS9_IT4_XT1_EEENS9_IjXT1_EEE
		.amdhsa_group_segment_fixed_size 0
		.amdhsa_private_segment_fixed_size 0
		.amdhsa_kernarg_size 60
		.amdhsa_user_sgpr_count 6
		.amdhsa_user_sgpr_private_segment_buffer 1
		.amdhsa_user_sgpr_dispatch_ptr 0
		.amdhsa_user_sgpr_queue_ptr 0
		.amdhsa_user_sgpr_kernarg_segment_ptr 1
		.amdhsa_user_sgpr_dispatch_id 0
		.amdhsa_user_sgpr_flat_scratch_init 0
		.amdhsa_user_sgpr_private_segment_size 0
		.amdhsa_uses_dynamic_stack 0
		.amdhsa_system_sgpr_private_segment_wavefront_offset 0
		.amdhsa_system_sgpr_workgroup_id_x 1
		.amdhsa_system_sgpr_workgroup_id_y 1
		.amdhsa_system_sgpr_workgroup_id_z 0
		.amdhsa_system_sgpr_workgroup_info 0
		.amdhsa_system_vgpr_workitem_id 0
		.amdhsa_next_free_vgpr 13
		.amdhsa_next_free_sgpr 29
		.amdhsa_reserve_vcc 1
		.amdhsa_reserve_flat_scratch 0
		.amdhsa_float_round_mode_32 0
		.amdhsa_float_round_mode_16_64 0
		.amdhsa_float_denorm_mode_32 3
		.amdhsa_float_denorm_mode_16_64 3
		.amdhsa_dx10_clamp 1
		.amdhsa_ieee_mode 1
		.amdhsa_fp16_overflow 0
		.amdhsa_exception_fp_ieee_invalid_op 0
		.amdhsa_exception_fp_denorm_src 0
		.amdhsa_exception_fp_ieee_div_zero 0
		.amdhsa_exception_fp_ieee_overflow 0
		.amdhsa_exception_fp_ieee_underflow 0
		.amdhsa_exception_fp_ieee_inexact 0
		.amdhsa_exception_int_div_zero 0
	.end_amdhsa_kernel
	.section	.text._ZN7rocprim6detail23histogram_global_kernelINS0_24wrapped_histogram_configINS_14default_configElLj1ELj1EEELj1ELj1EPlyNS0_18sample_to_bin_evenIlvEEEEvT2_jjNS0_11fixed_arrayIPT3_XT1_EEENS9_IT4_XT1_EEENS9_IjXT1_EEE,"axG",@progbits,_ZN7rocprim6detail23histogram_global_kernelINS0_24wrapped_histogram_configINS_14default_configElLj1ELj1EEELj1ELj1EPlyNS0_18sample_to_bin_evenIlvEEEEvT2_jjNS0_11fixed_arrayIPT3_XT1_EEENS9_IT4_XT1_EEENS9_IjXT1_EEE,comdat
.Lfunc_end2:
	.size	_ZN7rocprim6detail23histogram_global_kernelINS0_24wrapped_histogram_configINS_14default_configElLj1ELj1EEELj1ELj1EPlyNS0_18sample_to_bin_evenIlvEEEEvT2_jjNS0_11fixed_arrayIPT3_XT1_EEENS9_IT4_XT1_EEENS9_IjXT1_EEE, .Lfunc_end2-_ZN7rocprim6detail23histogram_global_kernelINS0_24wrapped_histogram_configINS_14default_configElLj1ELj1EEELj1ELj1EPlyNS0_18sample_to_bin_evenIlvEEEEvT2_jjNS0_11fixed_arrayIPT3_XT1_EEENS9_IT4_XT1_EEENS9_IjXT1_EEE
                                        ; -- End function
	.set _ZN7rocprim6detail23histogram_global_kernelINS0_24wrapped_histogram_configINS_14default_configElLj1ELj1EEELj1ELj1EPlyNS0_18sample_to_bin_evenIlvEEEEvT2_jjNS0_11fixed_arrayIPT3_XT1_EEENS9_IT4_XT1_EEENS9_IjXT1_EEE.num_vgpr, 13
	.set _ZN7rocprim6detail23histogram_global_kernelINS0_24wrapped_histogram_configINS_14default_configElLj1ELj1EEELj1ELj1EPlyNS0_18sample_to_bin_evenIlvEEEEvT2_jjNS0_11fixed_arrayIPT3_XT1_EEENS9_IT4_XT1_EEENS9_IjXT1_EEE.num_agpr, 0
	.set _ZN7rocprim6detail23histogram_global_kernelINS0_24wrapped_histogram_configINS_14default_configElLj1ELj1EEELj1ELj1EPlyNS0_18sample_to_bin_evenIlvEEEEvT2_jjNS0_11fixed_arrayIPT3_XT1_EEENS9_IT4_XT1_EEENS9_IjXT1_EEE.numbered_sgpr, 29
	.set _ZN7rocprim6detail23histogram_global_kernelINS0_24wrapped_histogram_configINS_14default_configElLj1ELj1EEELj1ELj1EPlyNS0_18sample_to_bin_evenIlvEEEEvT2_jjNS0_11fixed_arrayIPT3_XT1_EEENS9_IT4_XT1_EEENS9_IjXT1_EEE.num_named_barrier, 0
	.set _ZN7rocprim6detail23histogram_global_kernelINS0_24wrapped_histogram_configINS_14default_configElLj1ELj1EEELj1ELj1EPlyNS0_18sample_to_bin_evenIlvEEEEvT2_jjNS0_11fixed_arrayIPT3_XT1_EEENS9_IT4_XT1_EEENS9_IjXT1_EEE.private_seg_size, 0
	.set _ZN7rocprim6detail23histogram_global_kernelINS0_24wrapped_histogram_configINS_14default_configElLj1ELj1EEELj1ELj1EPlyNS0_18sample_to_bin_evenIlvEEEEvT2_jjNS0_11fixed_arrayIPT3_XT1_EEENS9_IT4_XT1_EEENS9_IjXT1_EEE.uses_vcc, 1
	.set _ZN7rocprim6detail23histogram_global_kernelINS0_24wrapped_histogram_configINS_14default_configElLj1ELj1EEELj1ELj1EPlyNS0_18sample_to_bin_evenIlvEEEEvT2_jjNS0_11fixed_arrayIPT3_XT1_EEENS9_IT4_XT1_EEENS9_IjXT1_EEE.uses_flat_scratch, 0
	.set _ZN7rocprim6detail23histogram_global_kernelINS0_24wrapped_histogram_configINS_14default_configElLj1ELj1EEELj1ELj1EPlyNS0_18sample_to_bin_evenIlvEEEEvT2_jjNS0_11fixed_arrayIPT3_XT1_EEENS9_IT4_XT1_EEENS9_IjXT1_EEE.has_dyn_sized_stack, 0
	.set _ZN7rocprim6detail23histogram_global_kernelINS0_24wrapped_histogram_configINS_14default_configElLj1ELj1EEELj1ELj1EPlyNS0_18sample_to_bin_evenIlvEEEEvT2_jjNS0_11fixed_arrayIPT3_XT1_EEENS9_IT4_XT1_EEENS9_IjXT1_EEE.has_recursion, 0
	.set _ZN7rocprim6detail23histogram_global_kernelINS0_24wrapped_histogram_configINS_14default_configElLj1ELj1EEELj1ELj1EPlyNS0_18sample_to_bin_evenIlvEEEEvT2_jjNS0_11fixed_arrayIPT3_XT1_EEENS9_IT4_XT1_EEENS9_IjXT1_EEE.has_indirect_call, 0
	.section	.AMDGPU.csdata,"",@progbits
; Kernel info:
; codeLenInByte = 2160
; TotalNumSgprs: 33
; NumVgprs: 13
; ScratchSize: 0
; MemoryBound: 1
; FloatMode: 240
; IeeeMode: 1
; LDSByteSize: 0 bytes/workgroup (compile time only)
; SGPRBlocks: 4
; VGPRBlocks: 3
; NumSGPRsForWavesPerEU: 33
; NumVGPRsForWavesPerEU: 13
; Occupancy: 10
; WaveLimiterHint : 1
; COMPUTE_PGM_RSRC2:SCRATCH_EN: 0
; COMPUTE_PGM_RSRC2:USER_SGPR: 6
; COMPUTE_PGM_RSRC2:TRAP_HANDLER: 0
; COMPUTE_PGM_RSRC2:TGID_X_EN: 1
; COMPUTE_PGM_RSRC2:TGID_Y_EN: 1
; COMPUTE_PGM_RSRC2:TGID_Z_EN: 0
; COMPUTE_PGM_RSRC2:TIDIG_COMP_CNT: 0
	.section	.text._ZN8rajaperf9algorithm24histogram_atomic_runtimeILl256EEEvPyPlllll,"axG",@progbits,_ZN8rajaperf9algorithm24histogram_atomic_runtimeILl256EEEvPyPlllll,comdat
	.protected	_ZN8rajaperf9algorithm24histogram_atomic_runtimeILl256EEEvPyPlllll ; -- Begin function _ZN8rajaperf9algorithm24histogram_atomic_runtimeILl256EEEvPyPlllll
	.globl	_ZN8rajaperf9algorithm24histogram_atomic_runtimeILl256EEEvPyPlllll
	.p2align	8
	.type	_ZN8rajaperf9algorithm24histogram_atomic_runtimeILl256EEEvPyPlllll,@function
_ZN8rajaperf9algorithm24histogram_atomic_runtimeILl256EEEvPyPlllll: ; @_ZN8rajaperf9algorithm24histogram_atomic_runtimeILl256EEEvPyPlllll
; %bb.0:
	s_load_dwordx4 s[16:19], s[4:5], 0x20
	s_load_dwordx8 s[8:15], s[4:5], 0x0
	s_mov_b64 s[0:1], -1
	s_waitcnt lgkmcnt(0)
	v_cmp_lt_i64_e64 s[2:3], s[16:17], 1
	s_and_b64 vcc, exec, s[2:3]
	s_cbranch_vccz .LBB3_5
; %bb.1:
	s_mov_b32 s7, 0
	s_lshl_b64 s[0:1], s[6:7], 8
	v_or_b32_e32 v1, s0, v0
	v_mov_b32_e32 v2, s1
	v_cmp_gt_i64_e32 vcc, s[12:13], v[1:2]
	s_and_saveexec_b64 s[2:3], vcc
	s_cbranch_execz .LBB3_4
; %bb.2:
	v_lshrrev_b64 v[3:4], 6, v[1:2]
	s_add_u32 s0, s18, -1
	s_addc_u32 s1, s19, -1
	v_and_b32_e32 v4, s1, v4
	v_and_b32_e32 v3, s0, v3
	v_mul_lo_u32 v5, v4, s14
	v_mul_lo_u32 v6, v3, s15
	v_mad_u64_u32 v[3:4], s[0:1], v3, s14, 0
	s_load_dword s0, s[4:5], 0x30
	s_mov_b32 s1, s7
	v_add3_u32 v4, v4, v6, v5
	v_lshlrev_b64 v[3:4], 3, v[3:4]
	s_lshl_b64 s[22:23], s[6:7], 11
	s_waitcnt lgkmcnt(0)
	s_lshl_b64 s[20:21], s[0:1], 8
	v_mov_b32_e32 v5, s9
	v_add_co_u32_e32 v7, vcc, s8, v3
	s_add_u32 s7, s10, s22
	v_addc_co_u32_e32 v8, vcc, v5, v4, vcc
	v_lshlrev_b32_e32 v3, 3, v0
	s_addc_u32 s19, s11, s23
	v_mov_b32_e32 v4, s19
	v_add_co_u32_e32 v3, vcc, s7, v3
	s_lshl_b64 s[22:23], s[0:1], 11
	v_mov_b32_e32 v5, 1
	v_addc_co_u32_e32 v4, vcc, 0, v4, vcc
	s_mov_b64 s[24:25], 0
	v_mov_b32_e32 v6, 0
	v_mov_b32_e32 v9, s21
	;; [unrolled: 1-line block ×3, first 2 shown]
.LBB3_3:                                ; =>This Inner Loop Header: Depth=1
	global_load_dwordx2 v[11:12], v[3:4], off
	s_waitcnt vmcnt(0)
	v_lshlrev_b64 v[11:12], 3, v[11:12]
	v_add_co_u32_e32 v11, vcc, v7, v11
	v_addc_co_u32_e32 v12, vcc, v8, v12, vcc
	global_atomic_add_x2 v[11:12], v[5:6], off
	v_add_co_u32_e32 v1, vcc, s20, v1
	v_addc_co_u32_e32 v2, vcc, v2, v9, vcc
	v_cmp_le_i64_e64 s[0:1], s[12:13], v[1:2]
	v_add_co_u32_e32 v3, vcc, s22, v3
	s_or_b64 s[24:25], s[0:1], s[24:25]
	v_addc_co_u32_e32 v4, vcc, v4, v10, vcc
	s_andn2_b64 exec, exec, s[24:25]
	s_cbranch_execnz .LBB3_3
.LBB3_4:
	s_or_b64 exec, exec, s[2:3]
	s_mov_b64 s[0:1], 0
.LBB3_5:
	s_andn2_b64 vcc, exec, s[0:1]
	s_cbranch_vccnz .LBB3_19
; %bb.6:
	s_mul_i32 s0, s16, s15
	s_mul_hi_u32 s1, s16, s14
	s_add_i32 s0, s1, s0
	s_mul_i32 s1, s17, s14
	v_mov_b32_e32 v1, 0
	s_add_i32 s1, s0, s1
	s_mul_i32 s0, s16, s14
	v_cmp_gt_i64_e32 vcc, s[0:1], v[0:1]
	s_and_saveexec_b64 s[2:3], vcc
	s_cbranch_execz .LBB3_9
; %bb.7:
	v_mov_b32_e32 v5, v1
	v_lshl_add_u32 v6, v0, 3, 0
	s_mov_b64 s[20:21], 0
	v_mov_b32_e32 v2, v1
	v_mov_b32_e32 v3, v1
	;; [unrolled: 1-line block ×3, first 2 shown]
.LBB3_8:                                ; =>This Inner Loop Header: Depth=1
	v_add_co_u32_e32 v4, vcc, 0x100, v4
	v_addc_co_u32_e32 v5, vcc, 0, v5, vcc
	v_cmp_le_i64_e32 vcc, s[0:1], v[4:5]
	ds_write_b64 v6, v[2:3]
	s_or_b64 s[20:21], vcc, s[20:21]
	v_add_u32_e32 v6, 0x800, v6
	s_andn2_b64 exec, exec, s[20:21]
	s_cbranch_execnz .LBB3_8
.LBB3_9:
	s_or_b64 exec, exec, s[2:3]
	s_mov_b32 s7, 0
	s_lshl_b64 s[0:1], s[6:7], 8
	v_mov_b32_e32 v3, s1
	v_or_b32_e32 v2, s0, v0
	v_cmp_gt_i64_e32 vcc, s[12:13], v[2:3]
	s_waitcnt vmcnt(0) lgkmcnt(0)
	s_barrier
	s_and_saveexec_b64 s[2:3], vcc
	s_cbranch_execz .LBB3_12
; %bb.10:
	s_load_dword s0, s[4:5], 0x30
	s_add_i32 s4, s16, -1
	s_mov_b32 s1, s7
	v_and_b32_e32 v4, s4, v0
	s_lshl_b64 s[20:21], s[6:7], 11
	s_waitcnt lgkmcnt(0)
	s_lshl_b64 s[4:5], s[0:1], 8
	s_add_u32 s7, s10, s20
	v_lshl_add_u32 v8, v4, 3, 0
	v_lshlrev_b32_e32 v4, 3, v0
	s_addc_u32 s10, s11, s21
	v_mov_b32_e32 v5, s10
	v_add_co_u32_e32 v4, vcc, s7, v4
	s_lshl_b64 s[10:11], s[0:1], 11
	v_mov_b32_e32 v6, 1
	v_addc_co_u32_e32 v5, vcc, 0, v5, vcc
	s_mov_b64 s[20:21], 0
	v_mov_b32_e32 v7, 0
	v_mov_b32_e32 v9, s5
	;; [unrolled: 1-line block ×3, first 2 shown]
.LBB3_11:                               ; =>This Inner Loop Header: Depth=1
	global_load_dword v11, v[4:5], off
	v_add_co_u32_e32 v2, vcc, s4, v2
	v_addc_co_u32_e32 v3, vcc, v3, v9, vcc
	v_cmp_le_i64_e64 s[0:1], s[12:13], v[2:3]
	v_add_co_u32_e32 v4, vcc, s10, v4
	s_or_b64 s[20:21], s[0:1], s[20:21]
	v_addc_co_u32_e32 v5, vcc, v5, v10, vcc
	s_waitcnt vmcnt(0)
	v_mul_lo_u32 v11, v11, s16
	v_lshl_add_u32 v11, v11, 3, v8
	ds_add_u64 v11, v[6:7]
	s_andn2_b64 exec, exec, s[20:21]
	s_cbranch_execnz .LBB3_11
.LBB3_12:
	s_or_b64 exec, exec, s[2:3]
	v_cmp_gt_i64_e32 vcc, s[14:15], v[0:1]
	s_waitcnt lgkmcnt(0)
	s_barrier
	s_and_saveexec_b64 s[0:1], vcc
	s_cbranch_execz .LBB3_19
; %bb.13:
	s_add_i32 s0, s18, -1
	s_and_b32 s0, s0, s6
	s_mul_i32 s1, s0, s15
	s_mul_hi_u32 s2, s0, s14
	s_add_i32 s1, s2, s1
	s_mul_i32 s0, s0, s14
	s_add_u32 s4, s16, -1
	s_lshl_b64 s[0:1], s[0:1], 3
	s_add_u32 s5, s8, s0
	s_addc_u32 s6, s9, s1
	s_mov_b64 s[0:1], 0
	s_branch .LBB3_15
.LBB3_14:                               ;   in Loop: Header=BB3_15 Depth=1
	s_or_b64 exec, exec, s[2:3]
	v_add_co_u32_e32 v0, vcc, 0x100, v0
	v_addc_co_u32_e32 v1, vcc, 0, v1, vcc
	v_cmp_le_i64_e32 vcc, s[14:15], v[0:1]
	s_or_b64 s[0:1], vcc, s[0:1]
	s_andn2_b64 exec, exec, s[0:1]
	s_cbranch_execz .LBB3_19
.LBB3_15:                               ; =>This Loop Header: Depth=1
                                        ;     Child Loop BB3_16 Depth 2
	v_mul_lo_u32 v4, v0, s16
	v_mov_b32_e32 v2, 0
	v_mov_b32_e32 v3, 0
	s_mov_b64 s[2:3], 0
	v_lshl_add_u32 v4, v4, 3, 0
.LBB3_16:                               ;   Parent Loop BB3_15 Depth=1
                                        ; =>  This Inner Loop Header: Depth=2
	s_and_b32 s7, s2, s4
	v_lshl_add_u32 v5, s7, 3, v4
	ds_read_b64 v[5:6], v5
	s_add_u32 s2, s2, 1
	s_addc_u32 s3, s3, 0
	s_cmp_eq_u64 s[16:17], s[2:3]
	s_waitcnt lgkmcnt(0)
	v_add_co_u32_e32 v2, vcc, v5, v2
	v_addc_co_u32_e32 v3, vcc, v6, v3, vcc
	s_cbranch_scc0 .LBB3_16
; %bb.17:                               ;   in Loop: Header=BB3_15 Depth=1
	v_cmp_ne_u64_e32 vcc, 0, v[2:3]
	s_and_saveexec_b64 s[2:3], vcc
	s_cbranch_execz .LBB3_14
; %bb.18:                               ;   in Loop: Header=BB3_15 Depth=1
	v_lshlrev_b64 v[4:5], 3, v[0:1]
	v_mov_b32_e32 v6, s6
	v_add_co_u32_e32 v4, vcc, s5, v4
	v_addc_co_u32_e32 v5, vcc, v6, v5, vcc
	global_atomic_add_x2 v[4:5], v[2:3], off
	s_branch .LBB3_14
.LBB3_19:
	s_endpgm
	.section	.rodata,"a",@progbits
	.p2align	6, 0x0
	.amdhsa_kernel _ZN8rajaperf9algorithm24histogram_atomic_runtimeILl256EEEvPyPlllll
		.amdhsa_group_segment_fixed_size 0
		.amdhsa_private_segment_fixed_size 0
		.amdhsa_kernarg_size 304
		.amdhsa_user_sgpr_count 6
		.amdhsa_user_sgpr_private_segment_buffer 1
		.amdhsa_user_sgpr_dispatch_ptr 0
		.amdhsa_user_sgpr_queue_ptr 0
		.amdhsa_user_sgpr_kernarg_segment_ptr 1
		.amdhsa_user_sgpr_dispatch_id 0
		.amdhsa_user_sgpr_flat_scratch_init 0
		.amdhsa_user_sgpr_private_segment_size 0
		.amdhsa_uses_dynamic_stack 0
		.amdhsa_system_sgpr_private_segment_wavefront_offset 0
		.amdhsa_system_sgpr_workgroup_id_x 1
		.amdhsa_system_sgpr_workgroup_id_y 0
		.amdhsa_system_sgpr_workgroup_id_z 0
		.amdhsa_system_sgpr_workgroup_info 0
		.amdhsa_system_vgpr_workitem_id 0
		.amdhsa_next_free_vgpr 13
		.amdhsa_next_free_sgpr 26
		.amdhsa_reserve_vcc 1
		.amdhsa_reserve_flat_scratch 0
		.amdhsa_float_round_mode_32 0
		.amdhsa_float_round_mode_16_64 0
		.amdhsa_float_denorm_mode_32 3
		.amdhsa_float_denorm_mode_16_64 3
		.amdhsa_dx10_clamp 1
		.amdhsa_ieee_mode 1
		.amdhsa_fp16_overflow 0
		.amdhsa_exception_fp_ieee_invalid_op 0
		.amdhsa_exception_fp_denorm_src 0
		.amdhsa_exception_fp_ieee_div_zero 0
		.amdhsa_exception_fp_ieee_overflow 0
		.amdhsa_exception_fp_ieee_underflow 0
		.amdhsa_exception_fp_ieee_inexact 0
		.amdhsa_exception_int_div_zero 0
	.end_amdhsa_kernel
	.section	.text._ZN8rajaperf9algorithm24histogram_atomic_runtimeILl256EEEvPyPlllll,"axG",@progbits,_ZN8rajaperf9algorithm24histogram_atomic_runtimeILl256EEEvPyPlllll,comdat
.Lfunc_end3:
	.size	_ZN8rajaperf9algorithm24histogram_atomic_runtimeILl256EEEvPyPlllll, .Lfunc_end3-_ZN8rajaperf9algorithm24histogram_atomic_runtimeILl256EEEvPyPlllll
                                        ; -- End function
	.set _ZN8rajaperf9algorithm24histogram_atomic_runtimeILl256EEEvPyPlllll.num_vgpr, 13
	.set _ZN8rajaperf9algorithm24histogram_atomic_runtimeILl256EEEvPyPlllll.num_agpr, 0
	.set _ZN8rajaperf9algorithm24histogram_atomic_runtimeILl256EEEvPyPlllll.numbered_sgpr, 26
	.set _ZN8rajaperf9algorithm24histogram_atomic_runtimeILl256EEEvPyPlllll.num_named_barrier, 0
	.set _ZN8rajaperf9algorithm24histogram_atomic_runtimeILl256EEEvPyPlllll.private_seg_size, 0
	.set _ZN8rajaperf9algorithm24histogram_atomic_runtimeILl256EEEvPyPlllll.uses_vcc, 1
	.set _ZN8rajaperf9algorithm24histogram_atomic_runtimeILl256EEEvPyPlllll.uses_flat_scratch, 0
	.set _ZN8rajaperf9algorithm24histogram_atomic_runtimeILl256EEEvPyPlllll.has_dyn_sized_stack, 0
	.set _ZN8rajaperf9algorithm24histogram_atomic_runtimeILl256EEEvPyPlllll.has_recursion, 0
	.set _ZN8rajaperf9algorithm24histogram_atomic_runtimeILl256EEEvPyPlllll.has_indirect_call, 0
	.section	.AMDGPU.csdata,"",@progbits
; Kernel info:
; codeLenInByte = 844
; TotalNumSgprs: 30
; NumVgprs: 13
; ScratchSize: 0
; MemoryBound: 0
; FloatMode: 240
; IeeeMode: 1
; LDSByteSize: 0 bytes/workgroup (compile time only)
; SGPRBlocks: 3
; VGPRBlocks: 3
; NumSGPRsForWavesPerEU: 30
; NumVGPRsForWavesPerEU: 13
; Occupancy: 10
; WaveLimiterHint : 1
; COMPUTE_PGM_RSRC2:SCRATCH_EN: 0
; COMPUTE_PGM_RSRC2:USER_SGPR: 6
; COMPUTE_PGM_RSRC2:TRAP_HANDLER: 0
; COMPUTE_PGM_RSRC2:TGID_X_EN: 1
; COMPUTE_PGM_RSRC2:TGID_Y_EN: 0
; COMPUTE_PGM_RSRC2:TGID_Z_EN: 0
; COMPUTE_PGM_RSRC2:TIDIG_COMP_CNT: 0
	.section	.text._ZN4RAJA6policy3hip4impl18forallp_hip_kernelINS1_8hip_execINS_17iteration_mapping6DirectENS_3hip11IndexGlobalILNS_9named_dimE0ELi256ELi0EEENS7_40AvoidDeviceMaxThreadOccupancyConcretizerINS7_34FractionOffsetOccupancyConcretizerINS_8FractionImLm1ELm1EEELln1EEEEELb1EEENS_9Iterators16numeric_iteratorIllPlEEZN8rajaperf9algorithm9HISTOGRAM26runHipVariantAtomicRuntimeILl256ELl32ELl4ENSM_11gpu_mapping20global_direct_helperEEEvNSM_9VariantIDEEUllE_lNS_4expt15ForallParamPackIJEEES6_SA_TnNSt9enable_ifIXaasr3std10is_base_ofINS5_10DirectBaseET4_EE5valuegtsrT5_10block_sizeLi0EEmE4typeELm256EEEvT1_T0_T2_T3_,"axG",@progbits,_ZN4RAJA6policy3hip4impl18forallp_hip_kernelINS1_8hip_execINS_17iteration_mapping6DirectENS_3hip11IndexGlobalILNS_9named_dimE0ELi256ELi0EEENS7_40AvoidDeviceMaxThreadOccupancyConcretizerINS7_34FractionOffsetOccupancyConcretizerINS_8FractionImLm1ELm1EEELln1EEEEELb1EEENS_9Iterators16numeric_iteratorIllPlEEZN8rajaperf9algorithm9HISTOGRAM26runHipVariantAtomicRuntimeILl256ELl32ELl4ENSM_11gpu_mapping20global_direct_helperEEEvNSM_9VariantIDEEUllE_lNS_4expt15ForallParamPackIJEEES6_SA_TnNSt9enable_ifIXaasr3std10is_base_ofINS5_10DirectBaseET4_EE5valuegtsrT5_10block_sizeLi0EEmE4typeELm256EEEvT1_T0_T2_T3_,comdat
	.protected	_ZN4RAJA6policy3hip4impl18forallp_hip_kernelINS1_8hip_execINS_17iteration_mapping6DirectENS_3hip11IndexGlobalILNS_9named_dimE0ELi256ELi0EEENS7_40AvoidDeviceMaxThreadOccupancyConcretizerINS7_34FractionOffsetOccupancyConcretizerINS_8FractionImLm1ELm1EEELln1EEEEELb1EEENS_9Iterators16numeric_iteratorIllPlEEZN8rajaperf9algorithm9HISTOGRAM26runHipVariantAtomicRuntimeILl256ELl32ELl4ENSM_11gpu_mapping20global_direct_helperEEEvNSM_9VariantIDEEUllE_lNS_4expt15ForallParamPackIJEEES6_SA_TnNSt9enable_ifIXaasr3std10is_base_ofINS5_10DirectBaseET4_EE5valuegtsrT5_10block_sizeLi0EEmE4typeELm256EEEvT1_T0_T2_T3_ ; -- Begin function _ZN4RAJA6policy3hip4impl18forallp_hip_kernelINS1_8hip_execINS_17iteration_mapping6DirectENS_3hip11IndexGlobalILNS_9named_dimE0ELi256ELi0EEENS7_40AvoidDeviceMaxThreadOccupancyConcretizerINS7_34FractionOffsetOccupancyConcretizerINS_8FractionImLm1ELm1EEELln1EEEEELb1EEENS_9Iterators16numeric_iteratorIllPlEEZN8rajaperf9algorithm9HISTOGRAM26runHipVariantAtomicRuntimeILl256ELl32ELl4ENSM_11gpu_mapping20global_direct_helperEEEvNSM_9VariantIDEEUllE_lNS_4expt15ForallParamPackIJEEES6_SA_TnNSt9enable_ifIXaasr3std10is_base_ofINS5_10DirectBaseET4_EE5valuegtsrT5_10block_sizeLi0EEmE4typeELm256EEEvT1_T0_T2_T3_
	.globl	_ZN4RAJA6policy3hip4impl18forallp_hip_kernelINS1_8hip_execINS_17iteration_mapping6DirectENS_3hip11IndexGlobalILNS_9named_dimE0ELi256ELi0EEENS7_40AvoidDeviceMaxThreadOccupancyConcretizerINS7_34FractionOffsetOccupancyConcretizerINS_8FractionImLm1ELm1EEELln1EEEEELb1EEENS_9Iterators16numeric_iteratorIllPlEEZN8rajaperf9algorithm9HISTOGRAM26runHipVariantAtomicRuntimeILl256ELl32ELl4ENSM_11gpu_mapping20global_direct_helperEEEvNSM_9VariantIDEEUllE_lNS_4expt15ForallParamPackIJEEES6_SA_TnNSt9enable_ifIXaasr3std10is_base_ofINS5_10DirectBaseET4_EE5valuegtsrT5_10block_sizeLi0EEmE4typeELm256EEEvT1_T0_T2_T3_
	.p2align	8
	.type	_ZN4RAJA6policy3hip4impl18forallp_hip_kernelINS1_8hip_execINS_17iteration_mapping6DirectENS_3hip11IndexGlobalILNS_9named_dimE0ELi256ELi0EEENS7_40AvoidDeviceMaxThreadOccupancyConcretizerINS7_34FractionOffsetOccupancyConcretizerINS_8FractionImLm1ELm1EEELln1EEEEELb1EEENS_9Iterators16numeric_iteratorIllPlEEZN8rajaperf9algorithm9HISTOGRAM26runHipVariantAtomicRuntimeILl256ELl32ELl4ENSM_11gpu_mapping20global_direct_helperEEEvNSM_9VariantIDEEUllE_lNS_4expt15ForallParamPackIJEEES6_SA_TnNSt9enable_ifIXaasr3std10is_base_ofINS5_10DirectBaseET4_EE5valuegtsrT5_10block_sizeLi0EEmE4typeELm256EEEvT1_T0_T2_T3_,@function
_ZN4RAJA6policy3hip4impl18forallp_hip_kernelINS1_8hip_execINS_17iteration_mapping6DirectENS_3hip11IndexGlobalILNS_9named_dimE0ELi256ELi0EEENS7_40AvoidDeviceMaxThreadOccupancyConcretizerINS7_34FractionOffsetOccupancyConcretizerINS_8FractionImLm1ELm1EEELln1EEEEELb1EEENS_9Iterators16numeric_iteratorIllPlEEZN8rajaperf9algorithm9HISTOGRAM26runHipVariantAtomicRuntimeILl256ELl32ELl4ENSM_11gpu_mapping20global_direct_helperEEEvNSM_9VariantIDEEUllE_lNS_4expt15ForallParamPackIJEEES6_SA_TnNSt9enable_ifIXaasr3std10is_base_ofINS5_10DirectBaseET4_EE5valuegtsrT5_10block_sizeLi0EEmE4typeELm256EEEvT1_T0_T2_T3_: ; @_ZN4RAJA6policy3hip4impl18forallp_hip_kernelINS1_8hip_execINS_17iteration_mapping6DirectENS_3hip11IndexGlobalILNS_9named_dimE0ELi256ELi0EEENS7_40AvoidDeviceMaxThreadOccupancyConcretizerINS7_34FractionOffsetOccupancyConcretizerINS_8FractionImLm1ELm1EEELln1EEEEELb1EEENS_9Iterators16numeric_iteratorIllPlEEZN8rajaperf9algorithm9HISTOGRAM26runHipVariantAtomicRuntimeILl256ELl32ELl4ENSM_11gpu_mapping20global_direct_helperEEEvNSM_9VariantIDEEUllE_lNS_4expt15ForallParamPackIJEEES6_SA_TnNSt9enable_ifIXaasr3std10is_base_ofINS5_10DirectBaseET4_EE5valuegtsrT5_10block_sizeLi0EEmE4typeELm256EEEvT1_T0_T2_T3_
; %bb.0:
	s_load_dwordx2 s[24:25], s[4:5], 0x0
	s_load_dwordx2 s[0:1], s[4:5], 0x50
	s_load_dwordx8 s[12:19], s[4:5], 0x10
	s_load_dwordx4 s[20:23], s[4:5], 0x40
	s_load_dword s9, s[4:5], 0x30
	s_waitcnt lgkmcnt(0)
	s_cmp_eq_u64 s[24:25], 0
	s_mov_b32 s2, s7
	s_cselect_b64 s[10:11], -1, 0
	s_cmp_lg_u64 s[24:25], 0
	s_cbranch_scc1 .LBB4_6
; %bb.1:
	s_cmp_eq_u32 s19, 0x7ffffffe
	s_cselect_b64 s[24:25], -1, 0
	s_cmp_eq_u32 0, -1
	s_cselect_b64 s[26:27], -1, 0
	s_or_b64 s[24:25], s[24:25], s[26:27]
	s_and_b64 vcc, exec, s[24:25]
	s_cbranch_vccnz .LBB4_6
; %bb.2:
	s_load_dword s3, s[4:5], 0x6c
	s_waitcnt lgkmcnt(0)
	s_lshr_b32 s7, s3, 16
	s_and_b32 s3, s3, 0xffff
	s_mul_i32 s7, s7, s3
	v_mul_lo_u32 v3, s7, v2
	v_mul_u32_u24_e32 v4, s3, v1
	s_mul_i32 s3, s9, s16
	v_add3_u32 v5, v4, v0, v3
	v_cmp_gt_i32_e32 vcc, s3, v5
	s_and_saveexec_b64 s[24:25], vcc
	s_cbranch_execz .LBB4_5
; %bb.3:
	s_load_dword s28, s[4:5], 0x70
	s_add_i32 s29, s19, 0
	v_mov_b32_e32 v3, s14
	s_mov_b64 s[26:27], 0
	v_lshl_add_u32 v6, v5, 3, s29
	s_waitcnt lgkmcnt(0)
	s_and_b32 s28, s28, 0xffff
	s_and_b32 s28, s28, 0xffff
	s_mul_i32 s7, s7, s28
	s_lshl_b32 s28, s7, 3
	v_mov_b32_e32 v4, s15
.LBB4_4:                                ; =>This Inner Loop Header: Depth=1
	v_add_u32_e32 v5, s7, v5
	v_cmp_le_i32_e32 vcc, s3, v5
	ds_write_b64 v6, v[3:4]
	s_or_b64 s[26:27], vcc, s[26:27]
	v_add_u32_e32 v6, s28, v6
	s_andn2_b64 exec, exec, s[26:27]
	s_cbranch_execnz .LBB4_4
.LBB4_5:
	s_or_b64 exec, exec, s[24:25]
	s_waitcnt lgkmcnt(0)
	s_barrier
.LBB4_6:
	s_mov_b32 s7, 0
	s_lshl_b64 s[24:25], s[6:7], 8
	v_or_b32_e32 v3, s24, v0
	v_mov_b32_e32 v4, s25
	v_cmp_gt_i64_e32 vcc, s[0:1], v[3:4]
	s_and_saveexec_b64 s[24:25], vcc
	s_cbranch_execz .LBB4_14
; %bb.7:
	v_lshlrev_b64 v[3:4], 3, v[3:4]
	v_mov_b32_e32 v5, s21
	v_add_co_u32_e32 v3, vcc, s20, v3
	v_addc_co_u32_e32 v4, vcc, v5, v4, vcc
	s_lshl_b64 s[0:1], s[22:23], 3
	v_mov_b32_e32 v5, s1
	v_add_co_u32_e32 v3, vcc, s0, v3
	v_addc_co_u32_e32 v4, vcc, v4, v5, vcc
	global_load_dword v3, v[3:4], off
	s_cmp_eq_u32 s19, 0x7ffffffe
	s_cselect_b64 s[0:1], -1, 0
	s_cmp_eq_u32 0, -1
	s_cselect_b64 s[20:21], -1, 0
	s_or_b64 s[0:1], s[0:1], s[20:21]
	s_cmp_lg_u64 s[14:15], 1
	s_cselect_b64 s[22:23], -1, 0
	v_cndmask_b32_e64 v4, 0, 1, s[22:23]
	s_mov_b64 s[20:21], -1
	s_and_b64 vcc, exec, s[0:1]
	v_cmp_ne_u32_e64 s[0:1], 1, v4
	s_cbranch_vccnz .LBB4_11
; %bb.8:
	s_and_b64 vcc, exec, s[0:1]
	s_cbranch_vccnz .LBB4_10
; %bb.9:
	s_load_dword s3, s[4:5], 0x6c
	s_waitcnt vmcnt(0)
	v_mul_lo_u32 v6, s9, v3
	v_lshlrev_b32_e32 v6, 3, v6
	s_waitcnt lgkmcnt(0)
	s_lshr_b32 s7, s3, 16
	s_and_b32 s3, s3, 0xffff
	v_mad_u32_u24 v4, v2, s7, v1
	v_mad_u64_u32 v[4:5], s[20:21], v4, s3, v[0:1]
	s_add_i32 s7, s9, -1
	s_add_i32 s3, s19, 0
	v_and_b32_e32 v4, s7, v4
	v_lshlrev_b32_e32 v7, 3, v4
	v_mov_b32_e32 v4, 1
	v_mov_b32_e32 v5, 0
	v_add3_u32 v6, s3, v7, v6
	ds_add_u64 v6, v[4:5]
.LBB4_10:
	s_mov_b64 s[20:21], 0
.LBB4_11:
	s_andn2_b64 vcc, exec, s[20:21]
	s_cbranch_vccnz .LBB4_14
; %bb.12:
	s_and_b64 vcc, exec, s[0:1]
	s_cbranch_vccnz .LBB4_14
; %bb.13:
	s_load_dwordx2 s[0:1], s[4:5], 0x60
	s_add_u32 s3, s4, 0x60
	v_mov_b32_e32 v4, 0
	s_addc_u32 s7, s5, 0
	global_load_dword v5, v4, s[4:5] offset:110
	s_waitcnt lgkmcnt(0)
	s_cmp_lt_u32 s6, s0
	s_cselect_b32 s20, 12, 18
	s_add_u32 s20, s3, s20
	s_addc_u32 s21, s7, 0
	global_load_ushort v4, v4, s[20:21]
	s_mul_i32 s1, s1, s8
	s_add_i32 s1, s1, s2
	s_mul_i32 s0, s1, s0
	s_add_i32 s3, s0, s6
	s_waitcnt vmcnt(1)
	v_and_b32_e32 v6, 0xffff, v5
	v_lshrrev_b32_e32 v5, 16, v5
	s_waitcnt vmcnt(0)
	v_mul_lo_u32 v7, v6, v4
	v_mul_lo_u32 v7, v7, v5
	v_mad_u32_u24 v5, v2, v6, v1
	v_mad_u64_u32 v[4:5], s[0:1], v5, v4, v[0:1]
	v_add_u32_e32 v5, 63, v7
	v_lshrrev_b32_e32 v5, 6, v5
	v_mul_lo_u32 v5, v5, s3
	v_lshrrev_b32_e32 v4, 6, v4
	s_add_i32 s0, s18, -1
	v_mov_b32_e32 v7, s13
	v_add_u32_e32 v4, v5, v4
	v_and_b32_e32 v4, s0, v4
	v_mad_u64_u32 v[3:4], s[0:1], v4, s17, v[3:4]
	v_mov_b32_e32 v5, 1
	v_mov_b32_e32 v6, 0
	v_ashrrev_i32_e32 v4, 31, v3
	v_lshlrev_b64 v[3:4], 3, v[3:4]
	v_add_co_u32_e32 v3, vcc, s12, v3
	v_addc_co_u32_e32 v4, vcc, v7, v4, vcc
	global_atomic_add_x2 v[3:4], v[5:6], off
.LBB4_14:
	s_or_b64 exec, exec, s[24:25]
	s_andn2_b64 vcc, exec, s[10:11]
	s_cbranch_vccnz .LBB4_24
; %bb.15:
	s_cmp_eq_u32 s19, 0x7ffffffe
	s_cselect_b64 s[0:1], -1, 0
	s_cmp_eq_u32 0, -1
	s_cselect_b64 s[10:11], -1, 0
	s_or_b64 s[0:1], s[0:1], s[10:11]
	s_and_b64 vcc, exec, s[0:1]
	s_cbranch_vccnz .LBB4_24
; %bb.16:
	s_load_dwordx2 s[0:1], s[4:5], 0x60
	s_add_u32 s3, s4, 0x60
	v_mov_b32_e32 v4, 0
	s_addc_u32 s7, s5, 0
	global_load_dword v3, v4, s[4:5] offset:110
	s_waitcnt lgkmcnt(0)
	s_cmp_lt_u32 s6, s0
	s_cselect_b32 s4, 12, 18
	s_add_u32 s4, s3, s4
	s_addc_u32 s5, s7, 0
	global_load_ushort v5, v4, s[4:5]
	s_waitcnt vmcnt(0)
	s_barrier
	v_and_b32_e32 v4, 0xffff, v3
	v_mul_lo_u32 v6, v4, v5
	v_mul_u32_u24_e32 v1, v1, v5
	v_mul_lo_u32 v2, v6, v2
	v_add3_u32 v2, v1, v0, v2
	v_cmp_gt_i32_e32 vcc, s16, v2
	s_and_saveexec_b64 s[4:5], vcc
	s_cbranch_execz .LBB4_24
; %bb.17:
	v_mul_lo_u32 v1, s9, v5
	s_mul_i32 s1, s1, s8
	v_lshrrev_b32_e32 v0, 16, v3
	s_add_i32 s1, s1, s2
	v_mul_lo_u32 v1, v1, v4
	v_mul_lo_u32 v3, v6, v0
	s_mul_i32 s0, s1, s0
	s_add_i32 s2, s0, s6
	v_mul_lo_u32 v0, v1, v0
	v_mul_lo_u32 v4, s9, v2
	s_cmp_gt_i32 s9, 0
	s_cselect_b64 s[0:1], -1, 0
	s_add_i32 s3, s18, -1
	s_and_b32 s6, s2, s3
	s_add_i32 s2, s19, 0
	v_lshlrev_b32_e32 v5, 3, v0
	v_cndmask_b32_e64 v0, 0, 1, s[0:1]
	s_mul_i32 s6, s6, s17
	v_lshl_add_u32 v4, v4, 3, s2
	s_mov_b64 s[2:3], 0
	v_cmp_ne_u32_e64 s[0:1], 1, v0
	s_branch .LBB4_19
.LBB4_18:                               ;   in Loop: Header=BB4_19 Depth=1
	s_or_b64 exec, exec, s[4:5]
	v_add_u32_e32 v2, v2, v3
	v_cmp_le_i32_e32 vcc, s16, v2
	s_or_b64 s[2:3], vcc, s[2:3]
	v_add_u32_e32 v4, v4, v5
	s_andn2_b64 exec, exec, s[2:3]
	s_cbranch_execz .LBB4_24
.LBB4_19:                               ; =>This Loop Header: Depth=1
                                        ;     Child Loop BB4_21 Depth 2
	v_mov_b32_e32 v0, s14
	s_and_b64 vcc, exec, s[0:1]
	v_mov_b32_e32 v1, s15
	s_cbranch_vccnz .LBB4_22
; %bb.20:                               ;   in Loop: Header=BB4_19 Depth=1
	v_mov_b32_e32 v0, s14
	v_mov_b32_e32 v1, s15
	;; [unrolled: 1-line block ×3, first 2 shown]
	s_mov_b32 s4, s9
.LBB4_21:                               ;   Parent Loop BB4_19 Depth=1
                                        ; =>  This Inner Loop Header: Depth=2
	ds_read_b64 v[7:8], v6
	s_add_i32 s4, s4, -1
	v_add_u32_e32 v6, 8, v6
	s_cmp_eq_u32 s4, 0
	s_waitcnt lgkmcnt(0)
	v_add_co_u32_e32 v0, vcc, v7, v0
	v_addc_co_u32_e32 v1, vcc, v8, v1, vcc
	s_cbranch_scc0 .LBB4_21
.LBB4_22:                               ;   in Loop: Header=BB4_19 Depth=1
	v_cmp_ne_u64_e32 vcc, s[14:15], v[0:1]
	s_and_saveexec_b64 s[4:5], vcc
	s_cbranch_execz .LBB4_18
; %bb.23:                               ;   in Loop: Header=BB4_19 Depth=1
	v_add_u32_e32 v6, s6, v2
	v_ashrrev_i32_e32 v7, 31, v6
	v_lshlrev_b64 v[6:7], 3, v[6:7]
	v_mov_b32_e32 v8, s13
	v_add_co_u32_e32 v6, vcc, s12, v6
	v_addc_co_u32_e32 v7, vcc, v8, v7, vcc
	global_atomic_add_x2 v[6:7], v[0:1], off
	s_branch .LBB4_18
.LBB4_24:
	s_endpgm
	.section	.rodata,"a",@progbits
	.p2align	6, 0x0
	.amdhsa_kernel _ZN4RAJA6policy3hip4impl18forallp_hip_kernelINS1_8hip_execINS_17iteration_mapping6DirectENS_3hip11IndexGlobalILNS_9named_dimE0ELi256ELi0EEENS7_40AvoidDeviceMaxThreadOccupancyConcretizerINS7_34FractionOffsetOccupancyConcretizerINS_8FractionImLm1ELm1EEELln1EEEEELb1EEENS_9Iterators16numeric_iteratorIllPlEEZN8rajaperf9algorithm9HISTOGRAM26runHipVariantAtomicRuntimeILl256ELl32ELl4ENSM_11gpu_mapping20global_direct_helperEEEvNSM_9VariantIDEEUllE_lNS_4expt15ForallParamPackIJEEES6_SA_TnNSt9enable_ifIXaasr3std10is_base_ofINS5_10DirectBaseET4_EE5valuegtsrT5_10block_sizeLi0EEmE4typeELm256EEEvT1_T0_T2_T3_
		.amdhsa_group_segment_fixed_size 0
		.amdhsa_private_segment_fixed_size 0
		.amdhsa_kernarg_size 352
		.amdhsa_user_sgpr_count 6
		.amdhsa_user_sgpr_private_segment_buffer 1
		.amdhsa_user_sgpr_dispatch_ptr 0
		.amdhsa_user_sgpr_queue_ptr 0
		.amdhsa_user_sgpr_kernarg_segment_ptr 1
		.amdhsa_user_sgpr_dispatch_id 0
		.amdhsa_user_sgpr_flat_scratch_init 0
		.amdhsa_user_sgpr_private_segment_size 0
		.amdhsa_uses_dynamic_stack 0
		.amdhsa_system_sgpr_private_segment_wavefront_offset 0
		.amdhsa_system_sgpr_workgroup_id_x 1
		.amdhsa_system_sgpr_workgroup_id_y 1
		.amdhsa_system_sgpr_workgroup_id_z 1
		.amdhsa_system_sgpr_workgroup_info 0
		.amdhsa_system_vgpr_workitem_id 2
		.amdhsa_next_free_vgpr 9
		.amdhsa_next_free_sgpr 30
		.amdhsa_reserve_vcc 1
		.amdhsa_reserve_flat_scratch 0
		.amdhsa_float_round_mode_32 0
		.amdhsa_float_round_mode_16_64 0
		.amdhsa_float_denorm_mode_32 3
		.amdhsa_float_denorm_mode_16_64 3
		.amdhsa_dx10_clamp 1
		.amdhsa_ieee_mode 1
		.amdhsa_fp16_overflow 0
		.amdhsa_exception_fp_ieee_invalid_op 0
		.amdhsa_exception_fp_denorm_src 0
		.amdhsa_exception_fp_ieee_div_zero 0
		.amdhsa_exception_fp_ieee_overflow 0
		.amdhsa_exception_fp_ieee_underflow 0
		.amdhsa_exception_fp_ieee_inexact 0
		.amdhsa_exception_int_div_zero 0
	.end_amdhsa_kernel
	.section	.text._ZN4RAJA6policy3hip4impl18forallp_hip_kernelINS1_8hip_execINS_17iteration_mapping6DirectENS_3hip11IndexGlobalILNS_9named_dimE0ELi256ELi0EEENS7_40AvoidDeviceMaxThreadOccupancyConcretizerINS7_34FractionOffsetOccupancyConcretizerINS_8FractionImLm1ELm1EEELln1EEEEELb1EEENS_9Iterators16numeric_iteratorIllPlEEZN8rajaperf9algorithm9HISTOGRAM26runHipVariantAtomicRuntimeILl256ELl32ELl4ENSM_11gpu_mapping20global_direct_helperEEEvNSM_9VariantIDEEUllE_lNS_4expt15ForallParamPackIJEEES6_SA_TnNSt9enable_ifIXaasr3std10is_base_ofINS5_10DirectBaseET4_EE5valuegtsrT5_10block_sizeLi0EEmE4typeELm256EEEvT1_T0_T2_T3_,"axG",@progbits,_ZN4RAJA6policy3hip4impl18forallp_hip_kernelINS1_8hip_execINS_17iteration_mapping6DirectENS_3hip11IndexGlobalILNS_9named_dimE0ELi256ELi0EEENS7_40AvoidDeviceMaxThreadOccupancyConcretizerINS7_34FractionOffsetOccupancyConcretizerINS_8FractionImLm1ELm1EEELln1EEEEELb1EEENS_9Iterators16numeric_iteratorIllPlEEZN8rajaperf9algorithm9HISTOGRAM26runHipVariantAtomicRuntimeILl256ELl32ELl4ENSM_11gpu_mapping20global_direct_helperEEEvNSM_9VariantIDEEUllE_lNS_4expt15ForallParamPackIJEEES6_SA_TnNSt9enable_ifIXaasr3std10is_base_ofINS5_10DirectBaseET4_EE5valuegtsrT5_10block_sizeLi0EEmE4typeELm256EEEvT1_T0_T2_T3_,comdat
.Lfunc_end4:
	.size	_ZN4RAJA6policy3hip4impl18forallp_hip_kernelINS1_8hip_execINS_17iteration_mapping6DirectENS_3hip11IndexGlobalILNS_9named_dimE0ELi256ELi0EEENS7_40AvoidDeviceMaxThreadOccupancyConcretizerINS7_34FractionOffsetOccupancyConcretizerINS_8FractionImLm1ELm1EEELln1EEEEELb1EEENS_9Iterators16numeric_iteratorIllPlEEZN8rajaperf9algorithm9HISTOGRAM26runHipVariantAtomicRuntimeILl256ELl32ELl4ENSM_11gpu_mapping20global_direct_helperEEEvNSM_9VariantIDEEUllE_lNS_4expt15ForallParamPackIJEEES6_SA_TnNSt9enable_ifIXaasr3std10is_base_ofINS5_10DirectBaseET4_EE5valuegtsrT5_10block_sizeLi0EEmE4typeELm256EEEvT1_T0_T2_T3_, .Lfunc_end4-_ZN4RAJA6policy3hip4impl18forallp_hip_kernelINS1_8hip_execINS_17iteration_mapping6DirectENS_3hip11IndexGlobalILNS_9named_dimE0ELi256ELi0EEENS7_40AvoidDeviceMaxThreadOccupancyConcretizerINS7_34FractionOffsetOccupancyConcretizerINS_8FractionImLm1ELm1EEELln1EEEEELb1EEENS_9Iterators16numeric_iteratorIllPlEEZN8rajaperf9algorithm9HISTOGRAM26runHipVariantAtomicRuntimeILl256ELl32ELl4ENSM_11gpu_mapping20global_direct_helperEEEvNSM_9VariantIDEEUllE_lNS_4expt15ForallParamPackIJEEES6_SA_TnNSt9enable_ifIXaasr3std10is_base_ofINS5_10DirectBaseET4_EE5valuegtsrT5_10block_sizeLi0EEmE4typeELm256EEEvT1_T0_T2_T3_
                                        ; -- End function
	.set _ZN4RAJA6policy3hip4impl18forallp_hip_kernelINS1_8hip_execINS_17iteration_mapping6DirectENS_3hip11IndexGlobalILNS_9named_dimE0ELi256ELi0EEENS7_40AvoidDeviceMaxThreadOccupancyConcretizerINS7_34FractionOffsetOccupancyConcretizerINS_8FractionImLm1ELm1EEELln1EEEEELb1EEENS_9Iterators16numeric_iteratorIllPlEEZN8rajaperf9algorithm9HISTOGRAM26runHipVariantAtomicRuntimeILl256ELl32ELl4ENSM_11gpu_mapping20global_direct_helperEEEvNSM_9VariantIDEEUllE_lNS_4expt15ForallParamPackIJEEES6_SA_TnNSt9enable_ifIXaasr3std10is_base_ofINS5_10DirectBaseET4_EE5valuegtsrT5_10block_sizeLi0EEmE4typeELm256EEEvT1_T0_T2_T3_.num_vgpr, 9
	.set _ZN4RAJA6policy3hip4impl18forallp_hip_kernelINS1_8hip_execINS_17iteration_mapping6DirectENS_3hip11IndexGlobalILNS_9named_dimE0ELi256ELi0EEENS7_40AvoidDeviceMaxThreadOccupancyConcretizerINS7_34FractionOffsetOccupancyConcretizerINS_8FractionImLm1ELm1EEELln1EEEEELb1EEENS_9Iterators16numeric_iteratorIllPlEEZN8rajaperf9algorithm9HISTOGRAM26runHipVariantAtomicRuntimeILl256ELl32ELl4ENSM_11gpu_mapping20global_direct_helperEEEvNSM_9VariantIDEEUllE_lNS_4expt15ForallParamPackIJEEES6_SA_TnNSt9enable_ifIXaasr3std10is_base_ofINS5_10DirectBaseET4_EE5valuegtsrT5_10block_sizeLi0EEmE4typeELm256EEEvT1_T0_T2_T3_.num_agpr, 0
	.set _ZN4RAJA6policy3hip4impl18forallp_hip_kernelINS1_8hip_execINS_17iteration_mapping6DirectENS_3hip11IndexGlobalILNS_9named_dimE0ELi256ELi0EEENS7_40AvoidDeviceMaxThreadOccupancyConcretizerINS7_34FractionOffsetOccupancyConcretizerINS_8FractionImLm1ELm1EEELln1EEEEELb1EEENS_9Iterators16numeric_iteratorIllPlEEZN8rajaperf9algorithm9HISTOGRAM26runHipVariantAtomicRuntimeILl256ELl32ELl4ENSM_11gpu_mapping20global_direct_helperEEEvNSM_9VariantIDEEUllE_lNS_4expt15ForallParamPackIJEEES6_SA_TnNSt9enable_ifIXaasr3std10is_base_ofINS5_10DirectBaseET4_EE5valuegtsrT5_10block_sizeLi0EEmE4typeELm256EEEvT1_T0_T2_T3_.numbered_sgpr, 30
	.set _ZN4RAJA6policy3hip4impl18forallp_hip_kernelINS1_8hip_execINS_17iteration_mapping6DirectENS_3hip11IndexGlobalILNS_9named_dimE0ELi256ELi0EEENS7_40AvoidDeviceMaxThreadOccupancyConcretizerINS7_34FractionOffsetOccupancyConcretizerINS_8FractionImLm1ELm1EEELln1EEEEELb1EEENS_9Iterators16numeric_iteratorIllPlEEZN8rajaperf9algorithm9HISTOGRAM26runHipVariantAtomicRuntimeILl256ELl32ELl4ENSM_11gpu_mapping20global_direct_helperEEEvNSM_9VariantIDEEUllE_lNS_4expt15ForallParamPackIJEEES6_SA_TnNSt9enable_ifIXaasr3std10is_base_ofINS5_10DirectBaseET4_EE5valuegtsrT5_10block_sizeLi0EEmE4typeELm256EEEvT1_T0_T2_T3_.num_named_barrier, 0
	.set _ZN4RAJA6policy3hip4impl18forallp_hip_kernelINS1_8hip_execINS_17iteration_mapping6DirectENS_3hip11IndexGlobalILNS_9named_dimE0ELi256ELi0EEENS7_40AvoidDeviceMaxThreadOccupancyConcretizerINS7_34FractionOffsetOccupancyConcretizerINS_8FractionImLm1ELm1EEELln1EEEEELb1EEENS_9Iterators16numeric_iteratorIllPlEEZN8rajaperf9algorithm9HISTOGRAM26runHipVariantAtomicRuntimeILl256ELl32ELl4ENSM_11gpu_mapping20global_direct_helperEEEvNSM_9VariantIDEEUllE_lNS_4expt15ForallParamPackIJEEES6_SA_TnNSt9enable_ifIXaasr3std10is_base_ofINS5_10DirectBaseET4_EE5valuegtsrT5_10block_sizeLi0EEmE4typeELm256EEEvT1_T0_T2_T3_.private_seg_size, 0
	.set _ZN4RAJA6policy3hip4impl18forallp_hip_kernelINS1_8hip_execINS_17iteration_mapping6DirectENS_3hip11IndexGlobalILNS_9named_dimE0ELi256ELi0EEENS7_40AvoidDeviceMaxThreadOccupancyConcretizerINS7_34FractionOffsetOccupancyConcretizerINS_8FractionImLm1ELm1EEELln1EEEEELb1EEENS_9Iterators16numeric_iteratorIllPlEEZN8rajaperf9algorithm9HISTOGRAM26runHipVariantAtomicRuntimeILl256ELl32ELl4ENSM_11gpu_mapping20global_direct_helperEEEvNSM_9VariantIDEEUllE_lNS_4expt15ForallParamPackIJEEES6_SA_TnNSt9enable_ifIXaasr3std10is_base_ofINS5_10DirectBaseET4_EE5valuegtsrT5_10block_sizeLi0EEmE4typeELm256EEEvT1_T0_T2_T3_.uses_vcc, 1
	.set _ZN4RAJA6policy3hip4impl18forallp_hip_kernelINS1_8hip_execINS_17iteration_mapping6DirectENS_3hip11IndexGlobalILNS_9named_dimE0ELi256ELi0EEENS7_40AvoidDeviceMaxThreadOccupancyConcretizerINS7_34FractionOffsetOccupancyConcretizerINS_8FractionImLm1ELm1EEELln1EEEEELb1EEENS_9Iterators16numeric_iteratorIllPlEEZN8rajaperf9algorithm9HISTOGRAM26runHipVariantAtomicRuntimeILl256ELl32ELl4ENSM_11gpu_mapping20global_direct_helperEEEvNSM_9VariantIDEEUllE_lNS_4expt15ForallParamPackIJEEES6_SA_TnNSt9enable_ifIXaasr3std10is_base_ofINS5_10DirectBaseET4_EE5valuegtsrT5_10block_sizeLi0EEmE4typeELm256EEEvT1_T0_T2_T3_.uses_flat_scratch, 0
	.set _ZN4RAJA6policy3hip4impl18forallp_hip_kernelINS1_8hip_execINS_17iteration_mapping6DirectENS_3hip11IndexGlobalILNS_9named_dimE0ELi256ELi0EEENS7_40AvoidDeviceMaxThreadOccupancyConcretizerINS7_34FractionOffsetOccupancyConcretizerINS_8FractionImLm1ELm1EEELln1EEEEELb1EEENS_9Iterators16numeric_iteratorIllPlEEZN8rajaperf9algorithm9HISTOGRAM26runHipVariantAtomicRuntimeILl256ELl32ELl4ENSM_11gpu_mapping20global_direct_helperEEEvNSM_9VariantIDEEUllE_lNS_4expt15ForallParamPackIJEEES6_SA_TnNSt9enable_ifIXaasr3std10is_base_ofINS5_10DirectBaseET4_EE5valuegtsrT5_10block_sizeLi0EEmE4typeELm256EEEvT1_T0_T2_T3_.has_dyn_sized_stack, 0
	.set _ZN4RAJA6policy3hip4impl18forallp_hip_kernelINS1_8hip_execINS_17iteration_mapping6DirectENS_3hip11IndexGlobalILNS_9named_dimE0ELi256ELi0EEENS7_40AvoidDeviceMaxThreadOccupancyConcretizerINS7_34FractionOffsetOccupancyConcretizerINS_8FractionImLm1ELm1EEELln1EEEEELb1EEENS_9Iterators16numeric_iteratorIllPlEEZN8rajaperf9algorithm9HISTOGRAM26runHipVariantAtomicRuntimeILl256ELl32ELl4ENSM_11gpu_mapping20global_direct_helperEEEvNSM_9VariantIDEEUllE_lNS_4expt15ForallParamPackIJEEES6_SA_TnNSt9enable_ifIXaasr3std10is_base_ofINS5_10DirectBaseET4_EE5valuegtsrT5_10block_sizeLi0EEmE4typeELm256EEEvT1_T0_T2_T3_.has_recursion, 0
	.set _ZN4RAJA6policy3hip4impl18forallp_hip_kernelINS1_8hip_execINS_17iteration_mapping6DirectENS_3hip11IndexGlobalILNS_9named_dimE0ELi256ELi0EEENS7_40AvoidDeviceMaxThreadOccupancyConcretizerINS7_34FractionOffsetOccupancyConcretizerINS_8FractionImLm1ELm1EEELln1EEEEELb1EEENS_9Iterators16numeric_iteratorIllPlEEZN8rajaperf9algorithm9HISTOGRAM26runHipVariantAtomicRuntimeILl256ELl32ELl4ENSM_11gpu_mapping20global_direct_helperEEEvNSM_9VariantIDEEUllE_lNS_4expt15ForallParamPackIJEEES6_SA_TnNSt9enable_ifIXaasr3std10is_base_ofINS5_10DirectBaseET4_EE5valuegtsrT5_10block_sizeLi0EEmE4typeELm256EEEvT1_T0_T2_T3_.has_indirect_call, 0
	.section	.AMDGPU.csdata,"",@progbits
; Kernel info:
; codeLenInByte = 1160
; TotalNumSgprs: 34
; NumVgprs: 9
; ScratchSize: 0
; MemoryBound: 0
; FloatMode: 240
; IeeeMode: 1
; LDSByteSize: 0 bytes/workgroup (compile time only)
; SGPRBlocks: 4
; VGPRBlocks: 2
; NumSGPRsForWavesPerEU: 34
; NumVGPRsForWavesPerEU: 9
; Occupancy: 10
; WaveLimiterHint : 1
; COMPUTE_PGM_RSRC2:SCRATCH_EN: 0
; COMPUTE_PGM_RSRC2:USER_SGPR: 6
; COMPUTE_PGM_RSRC2:TRAP_HANDLER: 0
; COMPUTE_PGM_RSRC2:TGID_X_EN: 1
; COMPUTE_PGM_RSRC2:TGID_Y_EN: 1
; COMPUTE_PGM_RSRC2:TGID_Z_EN: 1
; COMPUTE_PGM_RSRC2:TIDIG_COMP_CNT: 2
	.section	.text._ZN4RAJA6policy3hip4impl18forallp_hip_kernelINS1_8hip_execINS_17iteration_mapping11StridedLoopILm0EEENS_3hip11IndexGlobalILNS_9named_dimE0ELi256ELi0EEENS8_40AvoidDeviceMaxThreadOccupancyConcretizerINS8_34FractionOffsetOccupancyConcretizerINS_8FractionImLm1ELm1EEELln1EEEEELb1EEENS_9Iterators16numeric_iteratorIllPlEEZN8rajaperf9algorithm9HISTOGRAM26runHipVariantAtomicRuntimeILl256ELl32ELl4ENSN_11gpu_mapping40global_loop_occupancy_grid_stride_helperEEEvNSN_9VariantIDEEUllE_lNS_4expt15ForallParamPackIJEEES7_SB_TnNSt9enable_ifIXaaaasr3std10is_base_ofINS5_15StridedLoopBaseET4_EE5valuesr3std10is_base_ofINS5_15UnsizedLoopBaseES10_EE5valuegtsrT5_10block_sizeLi0EEmE4typeELm256EEEvT1_T0_T2_T3_,"axG",@progbits,_ZN4RAJA6policy3hip4impl18forallp_hip_kernelINS1_8hip_execINS_17iteration_mapping11StridedLoopILm0EEENS_3hip11IndexGlobalILNS_9named_dimE0ELi256ELi0EEENS8_40AvoidDeviceMaxThreadOccupancyConcretizerINS8_34FractionOffsetOccupancyConcretizerINS_8FractionImLm1ELm1EEELln1EEEEELb1EEENS_9Iterators16numeric_iteratorIllPlEEZN8rajaperf9algorithm9HISTOGRAM26runHipVariantAtomicRuntimeILl256ELl32ELl4ENSN_11gpu_mapping40global_loop_occupancy_grid_stride_helperEEEvNSN_9VariantIDEEUllE_lNS_4expt15ForallParamPackIJEEES7_SB_TnNSt9enable_ifIXaaaasr3std10is_base_ofINS5_15StridedLoopBaseET4_EE5valuesr3std10is_base_ofINS5_15UnsizedLoopBaseES10_EE5valuegtsrT5_10block_sizeLi0EEmE4typeELm256EEEvT1_T0_T2_T3_,comdat
	.protected	_ZN4RAJA6policy3hip4impl18forallp_hip_kernelINS1_8hip_execINS_17iteration_mapping11StridedLoopILm0EEENS_3hip11IndexGlobalILNS_9named_dimE0ELi256ELi0EEENS8_40AvoidDeviceMaxThreadOccupancyConcretizerINS8_34FractionOffsetOccupancyConcretizerINS_8FractionImLm1ELm1EEELln1EEEEELb1EEENS_9Iterators16numeric_iteratorIllPlEEZN8rajaperf9algorithm9HISTOGRAM26runHipVariantAtomicRuntimeILl256ELl32ELl4ENSN_11gpu_mapping40global_loop_occupancy_grid_stride_helperEEEvNSN_9VariantIDEEUllE_lNS_4expt15ForallParamPackIJEEES7_SB_TnNSt9enable_ifIXaaaasr3std10is_base_ofINS5_15StridedLoopBaseET4_EE5valuesr3std10is_base_ofINS5_15UnsizedLoopBaseES10_EE5valuegtsrT5_10block_sizeLi0EEmE4typeELm256EEEvT1_T0_T2_T3_ ; -- Begin function _ZN4RAJA6policy3hip4impl18forallp_hip_kernelINS1_8hip_execINS_17iteration_mapping11StridedLoopILm0EEENS_3hip11IndexGlobalILNS_9named_dimE0ELi256ELi0EEENS8_40AvoidDeviceMaxThreadOccupancyConcretizerINS8_34FractionOffsetOccupancyConcretizerINS_8FractionImLm1ELm1EEELln1EEEEELb1EEENS_9Iterators16numeric_iteratorIllPlEEZN8rajaperf9algorithm9HISTOGRAM26runHipVariantAtomicRuntimeILl256ELl32ELl4ENSN_11gpu_mapping40global_loop_occupancy_grid_stride_helperEEEvNSN_9VariantIDEEUllE_lNS_4expt15ForallParamPackIJEEES7_SB_TnNSt9enable_ifIXaaaasr3std10is_base_ofINS5_15StridedLoopBaseET4_EE5valuesr3std10is_base_ofINS5_15UnsizedLoopBaseES10_EE5valuegtsrT5_10block_sizeLi0EEmE4typeELm256EEEvT1_T0_T2_T3_
	.globl	_ZN4RAJA6policy3hip4impl18forallp_hip_kernelINS1_8hip_execINS_17iteration_mapping11StridedLoopILm0EEENS_3hip11IndexGlobalILNS_9named_dimE0ELi256ELi0EEENS8_40AvoidDeviceMaxThreadOccupancyConcretizerINS8_34FractionOffsetOccupancyConcretizerINS_8FractionImLm1ELm1EEELln1EEEEELb1EEENS_9Iterators16numeric_iteratorIllPlEEZN8rajaperf9algorithm9HISTOGRAM26runHipVariantAtomicRuntimeILl256ELl32ELl4ENSN_11gpu_mapping40global_loop_occupancy_grid_stride_helperEEEvNSN_9VariantIDEEUllE_lNS_4expt15ForallParamPackIJEEES7_SB_TnNSt9enable_ifIXaaaasr3std10is_base_ofINS5_15StridedLoopBaseET4_EE5valuesr3std10is_base_ofINS5_15UnsizedLoopBaseES10_EE5valuegtsrT5_10block_sizeLi0EEmE4typeELm256EEEvT1_T0_T2_T3_
	.p2align	8
	.type	_ZN4RAJA6policy3hip4impl18forallp_hip_kernelINS1_8hip_execINS_17iteration_mapping11StridedLoopILm0EEENS_3hip11IndexGlobalILNS_9named_dimE0ELi256ELi0EEENS8_40AvoidDeviceMaxThreadOccupancyConcretizerINS8_34FractionOffsetOccupancyConcretizerINS_8FractionImLm1ELm1EEELln1EEEEELb1EEENS_9Iterators16numeric_iteratorIllPlEEZN8rajaperf9algorithm9HISTOGRAM26runHipVariantAtomicRuntimeILl256ELl32ELl4ENSN_11gpu_mapping40global_loop_occupancy_grid_stride_helperEEEvNSN_9VariantIDEEUllE_lNS_4expt15ForallParamPackIJEEES7_SB_TnNSt9enable_ifIXaaaasr3std10is_base_ofINS5_15StridedLoopBaseET4_EE5valuesr3std10is_base_ofINS5_15UnsizedLoopBaseES10_EE5valuegtsrT5_10block_sizeLi0EEmE4typeELm256EEEvT1_T0_T2_T3_,@function
_ZN4RAJA6policy3hip4impl18forallp_hip_kernelINS1_8hip_execINS_17iteration_mapping11StridedLoopILm0EEENS_3hip11IndexGlobalILNS_9named_dimE0ELi256ELi0EEENS8_40AvoidDeviceMaxThreadOccupancyConcretizerINS8_34FractionOffsetOccupancyConcretizerINS_8FractionImLm1ELm1EEELln1EEEEELb1EEENS_9Iterators16numeric_iteratorIllPlEEZN8rajaperf9algorithm9HISTOGRAM26runHipVariantAtomicRuntimeILl256ELl32ELl4ENSN_11gpu_mapping40global_loop_occupancy_grid_stride_helperEEEvNSN_9VariantIDEEUllE_lNS_4expt15ForallParamPackIJEEES7_SB_TnNSt9enable_ifIXaaaasr3std10is_base_ofINS5_15StridedLoopBaseET4_EE5valuesr3std10is_base_ofINS5_15UnsizedLoopBaseES10_EE5valuegtsrT5_10block_sizeLi0EEmE4typeELm256EEEvT1_T0_T2_T3_: ; @_ZN4RAJA6policy3hip4impl18forallp_hip_kernelINS1_8hip_execINS_17iteration_mapping11StridedLoopILm0EEENS_3hip11IndexGlobalILNS_9named_dimE0ELi256ELi0EEENS8_40AvoidDeviceMaxThreadOccupancyConcretizerINS8_34FractionOffsetOccupancyConcretizerINS_8FractionImLm1ELm1EEELln1EEEEELb1EEENS_9Iterators16numeric_iteratorIllPlEEZN8rajaperf9algorithm9HISTOGRAM26runHipVariantAtomicRuntimeILl256ELl32ELl4ENSN_11gpu_mapping40global_loop_occupancy_grid_stride_helperEEEvNSN_9VariantIDEEUllE_lNS_4expt15ForallParamPackIJEEES7_SB_TnNSt9enable_ifIXaaaasr3std10is_base_ofINS5_15StridedLoopBaseET4_EE5valuesr3std10is_base_ofINS5_15UnsizedLoopBaseES10_EE5valuegtsrT5_10block_sizeLi0EEmE4typeELm256EEEvT1_T0_T2_T3_
; %bb.0:
	s_load_dwordx2 s[22:23], s[4:5], 0x0
	s_load_dwordx2 s[10:11], s[4:5], 0x50
	s_load_dwordx8 s[12:19], s[4:5], 0x10
	s_load_dwordx4 s[0:3], s[4:5], 0x40
	s_load_dword s33, s[4:5], 0x30
	s_waitcnt lgkmcnt(0)
	s_cmp_eq_u64 s[22:23], 0
	s_mov_b32 s9, s7
	s_cselect_b64 s[20:21], -1, 0
	s_cmp_lg_u64 s[22:23], 0
	s_cbranch_scc1 .LBB5_6
; %bb.1:
	s_cmp_eq_u32 s19, 0x7ffffffe
	s_cselect_b64 s[22:23], -1, 0
	s_cmp_eq_u32 0, -1
	s_cselect_b64 s[24:25], -1, 0
	s_or_b64 s[22:23], s[22:23], s[24:25]
	s_and_b64 vcc, exec, s[22:23]
	s_cbranch_vccnz .LBB5_6
; %bb.2:
	s_load_dword s7, s[4:5], 0x6c
	s_waitcnt lgkmcnt(0)
	s_lshr_b32 s26, s7, 16
	s_and_b32 s7, s7, 0xffff
	s_mul_i32 s26, s26, s7
	v_mul_lo_u32 v3, s26, v2
	v_mul_u32_u24_e32 v4, s7, v1
	s_mul_i32 s7, s33, s16
	v_add3_u32 v5, v4, v0, v3
	v_cmp_gt_i32_e32 vcc, s7, v5
	s_and_saveexec_b64 s[22:23], vcc
	s_cbranch_execz .LBB5_5
; %bb.3:
	s_load_dword s27, s[4:5], 0x70
	s_add_i32 s28, s19, 0
	v_mov_b32_e32 v3, s14
	s_mov_b64 s[24:25], 0
	v_lshl_add_u32 v6, v5, 3, s28
	s_waitcnt lgkmcnt(0)
	s_and_b32 s27, s27, 0xffff
	s_and_b32 s27, s27, 0xffff
	s_mul_i32 s26, s26, s27
	s_lshl_b32 s27, s26, 3
	v_mov_b32_e32 v4, s15
.LBB5_4:                                ; =>This Inner Loop Header: Depth=1
	v_add_u32_e32 v5, s26, v5
	v_cmp_le_i32_e32 vcc, s7, v5
	ds_write_b64 v6, v[3:4]
	s_or_b64 s[24:25], vcc, s[24:25]
	v_add_u32_e32 v6, s27, v6
	s_andn2_b64 exec, exec, s[24:25]
	s_cbranch_execnz .LBB5_4
.LBB5_5:
	s_or_b64 exec, exec, s[22:23]
	s_waitcnt lgkmcnt(0)
	s_barrier
.LBB5_6:
	s_mov_b32 s7, 0
	s_lshl_b64 s[22:23], s[6:7], 8
	v_or_b32_e32 v3, s22, v0
	v_mov_b32_e32 v4, s23
	v_cmp_gt_i64_e32 vcc, s[10:11], v[3:4]
	v_mov_b32_e32 v10, 0
	s_and_saveexec_b64 s[22:23], vcc
	s_cbranch_execz .LBB5_16
; %bb.7:
	s_cmp_lg_u32 s19, 0x7ffffffe
	s_cselect_b64 s[24:25], -1, 0
	s_add_i32 s36, s19, 0
	s_cmp_lg_u32 0, -1
	s_load_dword s28, s[4:5], 0x60
	s_cselect_b64 s[26:27], -1, 0
	s_and_b64 s[34:35], s[24:25], s[26:27]
	s_cmp_lg_u64 s[14:15], 1
	s_cselect_b64 s[40:41], -1, 0
	s_add_u32 s24, s4, 0x60
	s_mov_b32 s29, s7
	s_addc_u32 s25, s5, 0
	s_add_i32 s37, s33, 0x7fffffff
	s_add_i32 s38, s18, -1
	s_waitcnt lgkmcnt(0)
	s_lshl_b64 s[26:27], s[28:29], 8
	s_lshl_b64 s[30:31], s[6:7], 11
	;; [unrolled: 1-line block ×3, first 2 shown]
	s_add_u32 s2, s30, s2
	s_addc_u32 s3, s31, s3
	s_add_u32 s0, s0, s2
	v_lshlrev_b32_e32 v5, 3, v0
	s_addc_u32 s1, s1, s3
	v_cndmask_b32_e64 v9, 0, 1, s[34:35]
	v_mov_b32_e32 v6, s1
	v_add_co_u32_e32 v5, vcc, s0, v5
	v_mov_b32_e32 v7, 1
	v_cmp_ne_u32_e64 s[0:1], 1, v9
	v_cndmask_b32_e64 v9, 0, 1, s[40:41]
	v_addc_co_u32_e32 v6, vcc, 0, v6, vcc
	s_lshl_b64 s[28:29], s[28:29], 11
	s_mov_b64 s[30:31], 0
	v_mov_b32_e32 v8, 0
	v_cmp_ne_u32_e64 s[2:3], 1, v9
	s_branch .LBB5_9
.LBB5_8:                                ;   in Loop: Header=BB5_9 Depth=1
	s_waitcnt vmcnt(0)
	v_mov_b32_e32 v9, s27
	v_add_co_u32_e32 v3, vcc, s26, v3
	v_addc_co_u32_e32 v4, vcc, v4, v9, vcc
	v_cmp_le_i64_e32 vcc, s[10:11], v[3:4]
	v_mov_b32_e32 v9, s29
	s_or_b64 s[30:31], vcc, s[30:31]
	v_add_co_u32_e32 v5, vcc, s28, v5
	v_addc_co_u32_e32 v6, vcc, v6, v9, vcc
	s_andn2_b64 exec, exec, s[30:31]
	s_cbranch_execz .LBB5_16
.LBB5_9:                                ; =>This Inner Loop Header: Depth=1
	global_load_dword v9, v[5:6], off
	s_and_b64 vcc, exec, s[0:1]
	s_mov_b64 s[34:35], -1
	s_cbranch_vccnz .LBB5_13
; %bb.10:                               ;   in Loop: Header=BB5_9 Depth=1
	s_and_b64 vcc, exec, s[2:3]
	s_cbranch_vccnz .LBB5_12
; %bb.11:                               ;   in Loop: Header=BB5_9 Depth=1
	s_load_dword s7, s[24:25], 0xc
	s_waitcnt lgkmcnt(0)
	s_lshr_b32 s34, s7, 16
	s_and_b32 s7, s7, 0xffff
	v_mad_u32_u24 v11, v2, s34, v1
	v_mad_u64_u32 v[11:12], s[34:35], v11, s7, v[0:1]
	s_waitcnt vmcnt(0)
	v_mul_lo_u32 v12, s33, v9
	v_and_b32_e32 v11, s37, v11
	v_lshlrev_b32_e32 v11, 3, v11
	v_lshlrev_b32_e32 v12, 3, v12
	v_add3_u32 v11, s36, v11, v12
	ds_add_u64 v11, v[7:8]
.LBB5_12:                               ;   in Loop: Header=BB5_9 Depth=1
	s_mov_b64 s[34:35], 0
.LBB5_13:                               ;   in Loop: Header=BB5_9 Depth=1
	s_andn2_b64 vcc, exec, s[34:35]
	s_cbranch_vccnz .LBB5_8
; %bb.14:                               ;   in Loop: Header=BB5_9 Depth=1
	s_and_b64 vcc, exec, s[2:3]
	s_cbranch_vccnz .LBB5_8
; %bb.15:                               ;   in Loop: Header=BB5_9 Depth=1
	s_load_dwordx2 s[34:35], s[24:25], 0x0
	global_load_dword v11, v10, s[24:25] offset:14
	s_waitcnt lgkmcnt(0)
	s_cmp_lt_u32 s6, s34
	s_cselect_b32 s7, 12, 18
	s_add_u32 s40, s24, s7
	s_addc_u32 s41, s25, 0
	global_load_ushort v12, v10, s[40:41]
	s_mul_i32 s7, s35, s8
	s_add_i32 s7, s7, s9
	s_mul_i32 s7, s7, s34
	s_add_i32 s7, s7, s6
	s_waitcnt vmcnt(1)
	v_and_b32_e32 v13, 0xffff, v11
	v_lshrrev_b32_e32 v11, 16, v11
	s_waitcnt vmcnt(0)
	v_mul_lo_u32 v14, v13, v12
	v_mul_lo_u32 v14, v14, v11
	v_mad_u32_u24 v11, v2, v13, v1
	v_mad_u64_u32 v[11:12], s[34:35], v11, v12, v[0:1]
	v_add_u32_e32 v12, 63, v14
	v_lshrrev_b32_e32 v12, 6, v12
	v_mul_lo_u32 v12, v12, s7
	v_lshrrev_b32_e32 v11, 6, v11
	v_add_u32_e32 v11, v12, v11
	v_and_b32_e32 v11, s38, v11
	v_mad_u64_u32 v[11:12], s[34:35], v11, s17, v[9:10]
	v_mov_b32_e32 v9, s13
	v_ashrrev_i32_e32 v12, 31, v11
	v_lshlrev_b64 v[11:12], 3, v[11:12]
	v_add_co_u32_e32 v11, vcc, s12, v11
	v_addc_co_u32_e32 v12, vcc, v9, v12, vcc
	global_atomic_add_x2 v[11:12], v[7:8], off
	s_branch .LBB5_8
.LBB5_16:
	s_or_b64 exec, exec, s[22:23]
	s_andn2_b64 vcc, exec, s[20:21]
	s_cbranch_vccnz .LBB5_26
; %bb.17:
	s_cmp_eq_u32 s19, 0x7ffffffe
	s_cselect_b64 s[0:1], -1, 0
	s_cmp_eq_u32 0, -1
	s_cselect_b64 s[2:3], -1, 0
	s_or_b64 s[0:1], s[0:1], s[2:3]
	s_and_b64 vcc, exec, s[0:1]
	s_cbranch_vccnz .LBB5_26
; %bb.18:
	s_load_dwordx2 s[0:1], s[4:5], 0x60
	s_add_u32 s2, s4, 0x60
	v_mov_b32_e32 v4, 0
	s_addc_u32 s3, s5, 0
	global_load_dword v3, v4, s[4:5] offset:110
	s_waitcnt lgkmcnt(0)
	s_cmp_lt_u32 s6, s0
	s_cselect_b32 s4, 12, 18
	s_add_u32 s2, s2, s4
	s_addc_u32 s3, s3, 0
	global_load_ushort v5, v4, s[2:3]
	s_waitcnt vmcnt(0)
	s_barrier
	v_and_b32_e32 v4, 0xffff, v3
	v_mul_lo_u32 v6, v4, v5
	v_mul_u32_u24_e32 v1, v1, v5
	v_mul_lo_u32 v2, v6, v2
	v_add3_u32 v2, v1, v0, v2
	v_cmp_gt_i32_e32 vcc, s16, v2
	s_and_saveexec_b64 s[2:3], vcc
	s_cbranch_execz .LBB5_26
; %bb.19:
	v_mul_lo_u32 v1, s33, v5
	s_mul_i32 s1, s1, s8
	v_lshrrev_b32_e32 v0, 16, v3
	s_add_i32 s1, s1, s9
	v_mul_lo_u32 v1, v1, v4
	v_mul_lo_u32 v3, v6, v0
	s_mul_i32 s0, s1, s0
	s_add_i32 s2, s0, s6
	v_mul_lo_u32 v0, v1, v0
	v_mul_lo_u32 v4, s33, v2
	s_cmp_gt_i32 s33, 0
	s_cselect_b64 s[0:1], -1, 0
	s_add_i32 s3, s18, -1
	s_and_b32 s6, s2, s3
	s_add_i32 s2, s19, 0
	v_lshlrev_b32_e32 v5, 3, v0
	v_cndmask_b32_e64 v0, 0, 1, s[0:1]
	s_mul_i32 s6, s6, s17
	v_lshl_add_u32 v4, v4, 3, s2
	s_mov_b64 s[2:3], 0
	v_cmp_ne_u32_e64 s[0:1], 1, v0
	s_branch .LBB5_21
.LBB5_20:                               ;   in Loop: Header=BB5_21 Depth=1
	s_or_b64 exec, exec, s[4:5]
	v_add_u32_e32 v2, v2, v3
	v_cmp_le_i32_e32 vcc, s16, v2
	s_or_b64 s[2:3], vcc, s[2:3]
	v_add_u32_e32 v4, v4, v5
	s_andn2_b64 exec, exec, s[2:3]
	s_cbranch_execz .LBB5_26
.LBB5_21:                               ; =>This Loop Header: Depth=1
                                        ;     Child Loop BB5_23 Depth 2
	v_mov_b32_e32 v0, s14
	s_and_b64 vcc, exec, s[0:1]
	v_mov_b32_e32 v1, s15
	s_cbranch_vccnz .LBB5_24
; %bb.22:                               ;   in Loop: Header=BB5_21 Depth=1
	v_mov_b32_e32 v0, s14
	v_mov_b32_e32 v1, s15
	;; [unrolled: 1-line block ×3, first 2 shown]
	s_mov_b32 s4, s33
.LBB5_23:                               ;   Parent Loop BB5_21 Depth=1
                                        ; =>  This Inner Loop Header: Depth=2
	ds_read_b64 v[7:8], v6
	s_add_i32 s4, s4, -1
	v_add_u32_e32 v6, 8, v6
	s_cmp_eq_u32 s4, 0
	s_waitcnt lgkmcnt(0)
	v_add_co_u32_e32 v0, vcc, v7, v0
	v_addc_co_u32_e32 v1, vcc, v8, v1, vcc
	s_cbranch_scc0 .LBB5_23
.LBB5_24:                               ;   in Loop: Header=BB5_21 Depth=1
	v_cmp_ne_u64_e32 vcc, s[14:15], v[0:1]
	s_and_saveexec_b64 s[4:5], vcc
	s_cbranch_execz .LBB5_20
; %bb.25:                               ;   in Loop: Header=BB5_21 Depth=1
	v_add_u32_e32 v6, s6, v2
	v_ashrrev_i32_e32 v7, 31, v6
	v_lshlrev_b64 v[6:7], 3, v[6:7]
	v_mov_b32_e32 v8, s13
	v_add_co_u32_e32 v6, vcc, s12, v6
	v_addc_co_u32_e32 v7, vcc, v8, v7, vcc
	global_atomic_add_x2 v[6:7], v[0:1], off
	s_branch .LBB5_20
.LBB5_26:
	s_endpgm
	.section	.rodata,"a",@progbits
	.p2align	6, 0x0
	.amdhsa_kernel _ZN4RAJA6policy3hip4impl18forallp_hip_kernelINS1_8hip_execINS_17iteration_mapping11StridedLoopILm0EEENS_3hip11IndexGlobalILNS_9named_dimE0ELi256ELi0EEENS8_40AvoidDeviceMaxThreadOccupancyConcretizerINS8_34FractionOffsetOccupancyConcretizerINS_8FractionImLm1ELm1EEELln1EEEEELb1EEENS_9Iterators16numeric_iteratorIllPlEEZN8rajaperf9algorithm9HISTOGRAM26runHipVariantAtomicRuntimeILl256ELl32ELl4ENSN_11gpu_mapping40global_loop_occupancy_grid_stride_helperEEEvNSN_9VariantIDEEUllE_lNS_4expt15ForallParamPackIJEEES7_SB_TnNSt9enable_ifIXaaaasr3std10is_base_ofINS5_15StridedLoopBaseET4_EE5valuesr3std10is_base_ofINS5_15UnsizedLoopBaseES10_EE5valuegtsrT5_10block_sizeLi0EEmE4typeELm256EEEvT1_T0_T2_T3_
		.amdhsa_group_segment_fixed_size 0
		.amdhsa_private_segment_fixed_size 0
		.amdhsa_kernarg_size 352
		.amdhsa_user_sgpr_count 6
		.amdhsa_user_sgpr_private_segment_buffer 1
		.amdhsa_user_sgpr_dispatch_ptr 0
		.amdhsa_user_sgpr_queue_ptr 0
		.amdhsa_user_sgpr_kernarg_segment_ptr 1
		.amdhsa_user_sgpr_dispatch_id 0
		.amdhsa_user_sgpr_flat_scratch_init 0
		.amdhsa_user_sgpr_private_segment_size 0
		.amdhsa_uses_dynamic_stack 0
		.amdhsa_system_sgpr_private_segment_wavefront_offset 0
		.amdhsa_system_sgpr_workgroup_id_x 1
		.amdhsa_system_sgpr_workgroup_id_y 1
		.amdhsa_system_sgpr_workgroup_id_z 1
		.amdhsa_system_sgpr_workgroup_info 0
		.amdhsa_system_vgpr_workitem_id 2
		.amdhsa_next_free_vgpr 15
		.amdhsa_next_free_sgpr 42
		.amdhsa_reserve_vcc 1
		.amdhsa_reserve_flat_scratch 0
		.amdhsa_float_round_mode_32 0
		.amdhsa_float_round_mode_16_64 0
		.amdhsa_float_denorm_mode_32 3
		.amdhsa_float_denorm_mode_16_64 3
		.amdhsa_dx10_clamp 1
		.amdhsa_ieee_mode 1
		.amdhsa_fp16_overflow 0
		.amdhsa_exception_fp_ieee_invalid_op 0
		.amdhsa_exception_fp_denorm_src 0
		.amdhsa_exception_fp_ieee_div_zero 0
		.amdhsa_exception_fp_ieee_overflow 0
		.amdhsa_exception_fp_ieee_underflow 0
		.amdhsa_exception_fp_ieee_inexact 0
		.amdhsa_exception_int_div_zero 0
	.end_amdhsa_kernel
	.section	.text._ZN4RAJA6policy3hip4impl18forallp_hip_kernelINS1_8hip_execINS_17iteration_mapping11StridedLoopILm0EEENS_3hip11IndexGlobalILNS_9named_dimE0ELi256ELi0EEENS8_40AvoidDeviceMaxThreadOccupancyConcretizerINS8_34FractionOffsetOccupancyConcretizerINS_8FractionImLm1ELm1EEELln1EEEEELb1EEENS_9Iterators16numeric_iteratorIllPlEEZN8rajaperf9algorithm9HISTOGRAM26runHipVariantAtomicRuntimeILl256ELl32ELl4ENSN_11gpu_mapping40global_loop_occupancy_grid_stride_helperEEEvNSN_9VariantIDEEUllE_lNS_4expt15ForallParamPackIJEEES7_SB_TnNSt9enable_ifIXaaaasr3std10is_base_ofINS5_15StridedLoopBaseET4_EE5valuesr3std10is_base_ofINS5_15UnsizedLoopBaseES10_EE5valuegtsrT5_10block_sizeLi0EEmE4typeELm256EEEvT1_T0_T2_T3_,"axG",@progbits,_ZN4RAJA6policy3hip4impl18forallp_hip_kernelINS1_8hip_execINS_17iteration_mapping11StridedLoopILm0EEENS_3hip11IndexGlobalILNS_9named_dimE0ELi256ELi0EEENS8_40AvoidDeviceMaxThreadOccupancyConcretizerINS8_34FractionOffsetOccupancyConcretizerINS_8FractionImLm1ELm1EEELln1EEEEELb1EEENS_9Iterators16numeric_iteratorIllPlEEZN8rajaperf9algorithm9HISTOGRAM26runHipVariantAtomicRuntimeILl256ELl32ELl4ENSN_11gpu_mapping40global_loop_occupancy_grid_stride_helperEEEvNSN_9VariantIDEEUllE_lNS_4expt15ForallParamPackIJEEES7_SB_TnNSt9enable_ifIXaaaasr3std10is_base_ofINS5_15StridedLoopBaseET4_EE5valuesr3std10is_base_ofINS5_15UnsizedLoopBaseES10_EE5valuegtsrT5_10block_sizeLi0EEmE4typeELm256EEEvT1_T0_T2_T3_,comdat
.Lfunc_end5:
	.size	_ZN4RAJA6policy3hip4impl18forallp_hip_kernelINS1_8hip_execINS_17iteration_mapping11StridedLoopILm0EEENS_3hip11IndexGlobalILNS_9named_dimE0ELi256ELi0EEENS8_40AvoidDeviceMaxThreadOccupancyConcretizerINS8_34FractionOffsetOccupancyConcretizerINS_8FractionImLm1ELm1EEELln1EEEEELb1EEENS_9Iterators16numeric_iteratorIllPlEEZN8rajaperf9algorithm9HISTOGRAM26runHipVariantAtomicRuntimeILl256ELl32ELl4ENSN_11gpu_mapping40global_loop_occupancy_grid_stride_helperEEEvNSN_9VariantIDEEUllE_lNS_4expt15ForallParamPackIJEEES7_SB_TnNSt9enable_ifIXaaaasr3std10is_base_ofINS5_15StridedLoopBaseET4_EE5valuesr3std10is_base_ofINS5_15UnsizedLoopBaseES10_EE5valuegtsrT5_10block_sizeLi0EEmE4typeELm256EEEvT1_T0_T2_T3_, .Lfunc_end5-_ZN4RAJA6policy3hip4impl18forallp_hip_kernelINS1_8hip_execINS_17iteration_mapping11StridedLoopILm0EEENS_3hip11IndexGlobalILNS_9named_dimE0ELi256ELi0EEENS8_40AvoidDeviceMaxThreadOccupancyConcretizerINS8_34FractionOffsetOccupancyConcretizerINS_8FractionImLm1ELm1EEELln1EEEEELb1EEENS_9Iterators16numeric_iteratorIllPlEEZN8rajaperf9algorithm9HISTOGRAM26runHipVariantAtomicRuntimeILl256ELl32ELl4ENSN_11gpu_mapping40global_loop_occupancy_grid_stride_helperEEEvNSN_9VariantIDEEUllE_lNS_4expt15ForallParamPackIJEEES7_SB_TnNSt9enable_ifIXaaaasr3std10is_base_ofINS5_15StridedLoopBaseET4_EE5valuesr3std10is_base_ofINS5_15UnsizedLoopBaseES10_EE5valuegtsrT5_10block_sizeLi0EEmE4typeELm256EEEvT1_T0_T2_T3_
                                        ; -- End function
	.set _ZN4RAJA6policy3hip4impl18forallp_hip_kernelINS1_8hip_execINS_17iteration_mapping11StridedLoopILm0EEENS_3hip11IndexGlobalILNS_9named_dimE0ELi256ELi0EEENS8_40AvoidDeviceMaxThreadOccupancyConcretizerINS8_34FractionOffsetOccupancyConcretizerINS_8FractionImLm1ELm1EEELln1EEEEELb1EEENS_9Iterators16numeric_iteratorIllPlEEZN8rajaperf9algorithm9HISTOGRAM26runHipVariantAtomicRuntimeILl256ELl32ELl4ENSN_11gpu_mapping40global_loop_occupancy_grid_stride_helperEEEvNSN_9VariantIDEEUllE_lNS_4expt15ForallParamPackIJEEES7_SB_TnNSt9enable_ifIXaaaasr3std10is_base_ofINS5_15StridedLoopBaseET4_EE5valuesr3std10is_base_ofINS5_15UnsizedLoopBaseES10_EE5valuegtsrT5_10block_sizeLi0EEmE4typeELm256EEEvT1_T0_T2_T3_.num_vgpr, 15
	.set _ZN4RAJA6policy3hip4impl18forallp_hip_kernelINS1_8hip_execINS_17iteration_mapping11StridedLoopILm0EEENS_3hip11IndexGlobalILNS_9named_dimE0ELi256ELi0EEENS8_40AvoidDeviceMaxThreadOccupancyConcretizerINS8_34FractionOffsetOccupancyConcretizerINS_8FractionImLm1ELm1EEELln1EEEEELb1EEENS_9Iterators16numeric_iteratorIllPlEEZN8rajaperf9algorithm9HISTOGRAM26runHipVariantAtomicRuntimeILl256ELl32ELl4ENSN_11gpu_mapping40global_loop_occupancy_grid_stride_helperEEEvNSN_9VariantIDEEUllE_lNS_4expt15ForallParamPackIJEEES7_SB_TnNSt9enable_ifIXaaaasr3std10is_base_ofINS5_15StridedLoopBaseET4_EE5valuesr3std10is_base_ofINS5_15UnsizedLoopBaseES10_EE5valuegtsrT5_10block_sizeLi0EEmE4typeELm256EEEvT1_T0_T2_T3_.num_agpr, 0
	.set _ZN4RAJA6policy3hip4impl18forallp_hip_kernelINS1_8hip_execINS_17iteration_mapping11StridedLoopILm0EEENS_3hip11IndexGlobalILNS_9named_dimE0ELi256ELi0EEENS8_40AvoidDeviceMaxThreadOccupancyConcretizerINS8_34FractionOffsetOccupancyConcretizerINS_8FractionImLm1ELm1EEELln1EEEEELb1EEENS_9Iterators16numeric_iteratorIllPlEEZN8rajaperf9algorithm9HISTOGRAM26runHipVariantAtomicRuntimeILl256ELl32ELl4ENSN_11gpu_mapping40global_loop_occupancy_grid_stride_helperEEEvNSN_9VariantIDEEUllE_lNS_4expt15ForallParamPackIJEEES7_SB_TnNSt9enable_ifIXaaaasr3std10is_base_ofINS5_15StridedLoopBaseET4_EE5valuesr3std10is_base_ofINS5_15UnsizedLoopBaseES10_EE5valuegtsrT5_10block_sizeLi0EEmE4typeELm256EEEvT1_T0_T2_T3_.numbered_sgpr, 42
	.set _ZN4RAJA6policy3hip4impl18forallp_hip_kernelINS1_8hip_execINS_17iteration_mapping11StridedLoopILm0EEENS_3hip11IndexGlobalILNS_9named_dimE0ELi256ELi0EEENS8_40AvoidDeviceMaxThreadOccupancyConcretizerINS8_34FractionOffsetOccupancyConcretizerINS_8FractionImLm1ELm1EEELln1EEEEELb1EEENS_9Iterators16numeric_iteratorIllPlEEZN8rajaperf9algorithm9HISTOGRAM26runHipVariantAtomicRuntimeILl256ELl32ELl4ENSN_11gpu_mapping40global_loop_occupancy_grid_stride_helperEEEvNSN_9VariantIDEEUllE_lNS_4expt15ForallParamPackIJEEES7_SB_TnNSt9enable_ifIXaaaasr3std10is_base_ofINS5_15StridedLoopBaseET4_EE5valuesr3std10is_base_ofINS5_15UnsizedLoopBaseES10_EE5valuegtsrT5_10block_sizeLi0EEmE4typeELm256EEEvT1_T0_T2_T3_.num_named_barrier, 0
	.set _ZN4RAJA6policy3hip4impl18forallp_hip_kernelINS1_8hip_execINS_17iteration_mapping11StridedLoopILm0EEENS_3hip11IndexGlobalILNS_9named_dimE0ELi256ELi0EEENS8_40AvoidDeviceMaxThreadOccupancyConcretizerINS8_34FractionOffsetOccupancyConcretizerINS_8FractionImLm1ELm1EEELln1EEEEELb1EEENS_9Iterators16numeric_iteratorIllPlEEZN8rajaperf9algorithm9HISTOGRAM26runHipVariantAtomicRuntimeILl256ELl32ELl4ENSN_11gpu_mapping40global_loop_occupancy_grid_stride_helperEEEvNSN_9VariantIDEEUllE_lNS_4expt15ForallParamPackIJEEES7_SB_TnNSt9enable_ifIXaaaasr3std10is_base_ofINS5_15StridedLoopBaseET4_EE5valuesr3std10is_base_ofINS5_15UnsizedLoopBaseES10_EE5valuegtsrT5_10block_sizeLi0EEmE4typeELm256EEEvT1_T0_T2_T3_.private_seg_size, 0
	.set _ZN4RAJA6policy3hip4impl18forallp_hip_kernelINS1_8hip_execINS_17iteration_mapping11StridedLoopILm0EEENS_3hip11IndexGlobalILNS_9named_dimE0ELi256ELi0EEENS8_40AvoidDeviceMaxThreadOccupancyConcretizerINS8_34FractionOffsetOccupancyConcretizerINS_8FractionImLm1ELm1EEELln1EEEEELb1EEENS_9Iterators16numeric_iteratorIllPlEEZN8rajaperf9algorithm9HISTOGRAM26runHipVariantAtomicRuntimeILl256ELl32ELl4ENSN_11gpu_mapping40global_loop_occupancy_grid_stride_helperEEEvNSN_9VariantIDEEUllE_lNS_4expt15ForallParamPackIJEEES7_SB_TnNSt9enable_ifIXaaaasr3std10is_base_ofINS5_15StridedLoopBaseET4_EE5valuesr3std10is_base_ofINS5_15UnsizedLoopBaseES10_EE5valuegtsrT5_10block_sizeLi0EEmE4typeELm256EEEvT1_T0_T2_T3_.uses_vcc, 1
	.set _ZN4RAJA6policy3hip4impl18forallp_hip_kernelINS1_8hip_execINS_17iteration_mapping11StridedLoopILm0EEENS_3hip11IndexGlobalILNS_9named_dimE0ELi256ELi0EEENS8_40AvoidDeviceMaxThreadOccupancyConcretizerINS8_34FractionOffsetOccupancyConcretizerINS_8FractionImLm1ELm1EEELln1EEEEELb1EEENS_9Iterators16numeric_iteratorIllPlEEZN8rajaperf9algorithm9HISTOGRAM26runHipVariantAtomicRuntimeILl256ELl32ELl4ENSN_11gpu_mapping40global_loop_occupancy_grid_stride_helperEEEvNSN_9VariantIDEEUllE_lNS_4expt15ForallParamPackIJEEES7_SB_TnNSt9enable_ifIXaaaasr3std10is_base_ofINS5_15StridedLoopBaseET4_EE5valuesr3std10is_base_ofINS5_15UnsizedLoopBaseES10_EE5valuegtsrT5_10block_sizeLi0EEmE4typeELm256EEEvT1_T0_T2_T3_.uses_flat_scratch, 0
	.set _ZN4RAJA6policy3hip4impl18forallp_hip_kernelINS1_8hip_execINS_17iteration_mapping11StridedLoopILm0EEENS_3hip11IndexGlobalILNS_9named_dimE0ELi256ELi0EEENS8_40AvoidDeviceMaxThreadOccupancyConcretizerINS8_34FractionOffsetOccupancyConcretizerINS_8FractionImLm1ELm1EEELln1EEEEELb1EEENS_9Iterators16numeric_iteratorIllPlEEZN8rajaperf9algorithm9HISTOGRAM26runHipVariantAtomicRuntimeILl256ELl32ELl4ENSN_11gpu_mapping40global_loop_occupancy_grid_stride_helperEEEvNSN_9VariantIDEEUllE_lNS_4expt15ForallParamPackIJEEES7_SB_TnNSt9enable_ifIXaaaasr3std10is_base_ofINS5_15StridedLoopBaseET4_EE5valuesr3std10is_base_ofINS5_15UnsizedLoopBaseES10_EE5valuegtsrT5_10block_sizeLi0EEmE4typeELm256EEEvT1_T0_T2_T3_.has_dyn_sized_stack, 0
	.set _ZN4RAJA6policy3hip4impl18forallp_hip_kernelINS1_8hip_execINS_17iteration_mapping11StridedLoopILm0EEENS_3hip11IndexGlobalILNS_9named_dimE0ELi256ELi0EEENS8_40AvoidDeviceMaxThreadOccupancyConcretizerINS8_34FractionOffsetOccupancyConcretizerINS_8FractionImLm1ELm1EEELln1EEEEELb1EEENS_9Iterators16numeric_iteratorIllPlEEZN8rajaperf9algorithm9HISTOGRAM26runHipVariantAtomicRuntimeILl256ELl32ELl4ENSN_11gpu_mapping40global_loop_occupancy_grid_stride_helperEEEvNSN_9VariantIDEEUllE_lNS_4expt15ForallParamPackIJEEES7_SB_TnNSt9enable_ifIXaaaasr3std10is_base_ofINS5_15StridedLoopBaseET4_EE5valuesr3std10is_base_ofINS5_15UnsizedLoopBaseES10_EE5valuegtsrT5_10block_sizeLi0EEmE4typeELm256EEEvT1_T0_T2_T3_.has_recursion, 0
	.set _ZN4RAJA6policy3hip4impl18forallp_hip_kernelINS1_8hip_execINS_17iteration_mapping11StridedLoopILm0EEENS_3hip11IndexGlobalILNS_9named_dimE0ELi256ELi0EEENS8_40AvoidDeviceMaxThreadOccupancyConcretizerINS8_34FractionOffsetOccupancyConcretizerINS_8FractionImLm1ELm1EEELln1EEEEELb1EEENS_9Iterators16numeric_iteratorIllPlEEZN8rajaperf9algorithm9HISTOGRAM26runHipVariantAtomicRuntimeILl256ELl32ELl4ENSN_11gpu_mapping40global_loop_occupancy_grid_stride_helperEEEvNSN_9VariantIDEEUllE_lNS_4expt15ForallParamPackIJEEES7_SB_TnNSt9enable_ifIXaaaasr3std10is_base_ofINS5_15StridedLoopBaseET4_EE5valuesr3std10is_base_ofINS5_15UnsizedLoopBaseES10_EE5valuegtsrT5_10block_sizeLi0EEmE4typeELm256EEEvT1_T0_T2_T3_.has_indirect_call, 0
	.section	.AMDGPU.csdata,"",@progbits
; Kernel info:
; codeLenInByte = 1256
; TotalNumSgprs: 46
; NumVgprs: 15
; ScratchSize: 0
; MemoryBound: 0
; FloatMode: 240
; IeeeMode: 1
; LDSByteSize: 0 bytes/workgroup (compile time only)
; SGPRBlocks: 5
; VGPRBlocks: 3
; NumSGPRsForWavesPerEU: 46
; NumVGPRsForWavesPerEU: 15
; Occupancy: 10
; WaveLimiterHint : 1
; COMPUTE_PGM_RSRC2:SCRATCH_EN: 0
; COMPUTE_PGM_RSRC2:USER_SGPR: 6
; COMPUTE_PGM_RSRC2:TRAP_HANDLER: 0
; COMPUTE_PGM_RSRC2:TGID_X_EN: 1
; COMPUTE_PGM_RSRC2:TGID_Y_EN: 1
; COMPUTE_PGM_RSRC2:TGID_Z_EN: 1
; COMPUTE_PGM_RSRC2:TIDIG_COMP_CNT: 2
	.section	.AMDGPU.gpr_maximums,"",@progbits
	.set amdgpu.max_num_vgpr, 0
	.set amdgpu.max_num_agpr, 0
	.set amdgpu.max_num_sgpr, 0
	.section	.AMDGPU.csdata,"",@progbits
	.type	__hip_cuid_da0307e501d42a58,@object ; @__hip_cuid_da0307e501d42a58
	.section	.bss,"aw",@nobits
	.globl	__hip_cuid_da0307e501d42a58
__hip_cuid_da0307e501d42a58:
	.byte	0                               ; 0x0
	.size	__hip_cuid_da0307e501d42a58, 1

	.ident	"AMD clang version 22.0.0git (https://github.com/RadeonOpenCompute/llvm-project roc-7.2.4 26084 f58b06dce1f9c15707c5f808fd002e18c2accf7e)"
	.section	".note.GNU-stack","",@progbits
	.addrsig
	.addrsig_sym _ZN7rocprim6detail15block_histogramE
	.addrsig_sym _ZN8rajaperf9algorithm13shared_countsE
	.addrsig_sym _ZN4RAJA3hip10shared_memE
	.addrsig_sym __hip_cuid_da0307e501d42a58
	.amdgpu_metadata
---
amdhsa.kernels:
  - .args:
      - .address_space:  global
        .offset:         0
        .size:           8
        .value_kind:     global_buffer
      - .offset:         8
        .size:           4
        .value_kind:     by_value
    .group_segment_fixed_size: 0
    .kernarg_segment_align: 8
    .kernarg_segment_size: 12
    .language:       OpenCL C
    .language_version:
      - 2
      - 0
    .max_flat_workgroup_size: 256
    .name:           _ZN7rocprim6detail21init_histogram_kernelINS0_24wrapped_histogram_configINS_14default_configElLj1ELj1EEELj1EyEEvNS0_11fixed_arrayIPT1_XT0_EEENS5_IjXT0_EEE
    .private_segment_fixed_size: 0
    .sgpr_count:     11
    .sgpr_spill_count: 0
    .symbol:         _ZN7rocprim6detail21init_histogram_kernelINS0_24wrapped_histogram_configINS_14default_configElLj1ELj1EEELj1EyEEvNS0_11fixed_arrayIPT1_XT0_EEENS5_IjXT0_EEE.kd
    .uniform_work_group_size: 1
    .uses_dynamic_stack: false
    .vgpr_count:     4
    .vgpr_spill_count: 0
    .wavefront_size: 64
  - .args:
      - .address_space:  global
        .offset:         0
        .size:           8
        .value_kind:     global_buffer
      - .offset:         8
        .size:           4
        .value_kind:     by_value
      - .offset:         12
        .size:           4
        .value_kind:     by_value
      - .offset:         16
        .size:           4
        .value_kind:     by_value
      - .offset:         20
        .size:           4
        .value_kind:     by_value
      - .offset:         24
        .size:           4
        .value_kind:     by_value
      - .address_space:  global
        .offset:         32
        .size:           8
        .value_kind:     global_buffer
      - .offset:         40
        .size:           32
        .value_kind:     by_value
      - .offset:         72
        .size:           4
        .value_kind:     by_value
      - .offset:         80
        .size:           4
        .value_kind:     hidden_block_count_x
      - .offset:         84
        .size:           4
        .value_kind:     hidden_block_count_y
      - .offset:         88
        .size:           4
        .value_kind:     hidden_block_count_z
      - .offset:         92
        .size:           2
        .value_kind:     hidden_group_size_x
      - .offset:         94
        .size:           2
        .value_kind:     hidden_group_size_y
      - .offset:         96
        .size:           2
        .value_kind:     hidden_group_size_z
      - .offset:         98
        .size:           2
        .value_kind:     hidden_remainder_x
      - .offset:         100
        .size:           2
        .value_kind:     hidden_remainder_y
      - .offset:         102
        .size:           2
        .value_kind:     hidden_remainder_z
      - .offset:         120
        .size:           8
        .value_kind:     hidden_global_offset_x
      - .offset:         128
        .size:           8
        .value_kind:     hidden_global_offset_y
      - .offset:         136
        .size:           8
        .value_kind:     hidden_global_offset_z
      - .offset:         144
        .size:           2
        .value_kind:     hidden_grid_dims
      - .offset:         200
        .size:           4
        .value_kind:     hidden_dynamic_lds_size
    .group_segment_fixed_size: 0
    .kernarg_segment_align: 8
    .kernarg_segment_size: 336
    .language:       OpenCL C
    .language_version:
      - 2
      - 0
    .max_flat_workgroup_size: 256
    .name:           _ZN7rocprim6detail23histogram_shared_kernelINS0_24wrapped_histogram_configINS_14default_configElLj1ELj1EEELj1ELj1EPlyNS0_18sample_to_bin_evenIlvEEEEvT2_jjjjjNS0_11fixed_arrayIPT3_XT1_EEENS9_IT4_XT1_EEENS9_IjXT1_EEE
    .private_segment_fixed_size: 0
    .sgpr_count:     54
    .sgpr_spill_count: 0
    .symbol:         _ZN7rocprim6detail23histogram_shared_kernelINS0_24wrapped_histogram_configINS_14default_configElLj1ELj1EEELj1ELj1EPlyNS0_18sample_to_bin_evenIlvEEEEvT2_jjjjjNS0_11fixed_arrayIPT3_XT1_EEENS9_IT4_XT1_EEENS9_IjXT1_EEE.kd
    .uniform_work_group_size: 1
    .uses_dynamic_stack: false
    .vgpr_count:     23
    .vgpr_spill_count: 0
    .wavefront_size: 64
  - .args:
      - .address_space:  global
        .offset:         0
        .size:           8
        .value_kind:     global_buffer
      - .offset:         8
        .size:           4
        .value_kind:     by_value
      - .offset:         12
        .size:           4
        .value_kind:     by_value
      - .address_space:  global
        .offset:         16
        .size:           8
        .value_kind:     global_buffer
      - .offset:         24
        .size:           32
        .value_kind:     by_value
      - .offset:         56
        .size:           4
        .value_kind:     by_value
    .group_segment_fixed_size: 0
    .kernarg_segment_align: 8
    .kernarg_segment_size: 60
    .language:       OpenCL C
    .language_version:
      - 2
      - 0
    .max_flat_workgroup_size: 256
    .name:           _ZN7rocprim6detail23histogram_global_kernelINS0_24wrapped_histogram_configINS_14default_configElLj1ELj1EEELj1ELj1EPlyNS0_18sample_to_bin_evenIlvEEEEvT2_jjNS0_11fixed_arrayIPT3_XT1_EEENS9_IT4_XT1_EEENS9_IjXT1_EEE
    .private_segment_fixed_size: 0
    .sgpr_count:     33
    .sgpr_spill_count: 0
    .symbol:         _ZN7rocprim6detail23histogram_global_kernelINS0_24wrapped_histogram_configINS_14default_configElLj1ELj1EEELj1ELj1EPlyNS0_18sample_to_bin_evenIlvEEEEvT2_jjNS0_11fixed_arrayIPT3_XT1_EEENS9_IT4_XT1_EEENS9_IjXT1_EEE.kd
    .uniform_work_group_size: 1
    .uses_dynamic_stack: false
    .vgpr_count:     13
    .vgpr_spill_count: 0
    .wavefront_size: 64
  - .args:
      - .address_space:  global
        .offset:         0
        .size:           8
        .value_kind:     global_buffer
      - .address_space:  global
        .offset:         8
        .size:           8
        .value_kind:     global_buffer
      - .offset:         16
        .size:           8
        .value_kind:     by_value
      - .offset:         24
        .size:           8
        .value_kind:     by_value
      - .offset:         32
        .size:           8
        .value_kind:     by_value
      - .offset:         40
        .size:           8
        .value_kind:     by_value
      - .offset:         48
        .size:           4
        .value_kind:     hidden_block_count_x
      - .offset:         52
        .size:           4
        .value_kind:     hidden_block_count_y
      - .offset:         56
        .size:           4
        .value_kind:     hidden_block_count_z
      - .offset:         60
        .size:           2
        .value_kind:     hidden_group_size_x
      - .offset:         62
        .size:           2
        .value_kind:     hidden_group_size_y
      - .offset:         64
        .size:           2
        .value_kind:     hidden_group_size_z
      - .offset:         66
        .size:           2
        .value_kind:     hidden_remainder_x
      - .offset:         68
        .size:           2
        .value_kind:     hidden_remainder_y
      - .offset:         70
        .size:           2
        .value_kind:     hidden_remainder_z
      - .offset:         88
        .size:           8
        .value_kind:     hidden_global_offset_x
      - .offset:         96
        .size:           8
        .value_kind:     hidden_global_offset_y
      - .offset:         104
        .size:           8
        .value_kind:     hidden_global_offset_z
      - .offset:         112
        .size:           2
        .value_kind:     hidden_grid_dims
      - .offset:         168
        .size:           4
        .value_kind:     hidden_dynamic_lds_size
    .group_segment_fixed_size: 0
    .kernarg_segment_align: 8
    .kernarg_segment_size: 304
    .language:       OpenCL C
    .language_version:
      - 2
      - 0
    .max_flat_workgroup_size: 256
    .name:           _ZN8rajaperf9algorithm24histogram_atomic_runtimeILl256EEEvPyPlllll
    .private_segment_fixed_size: 0
    .sgpr_count:     30
    .sgpr_spill_count: 0
    .symbol:         _ZN8rajaperf9algorithm24histogram_atomic_runtimeILl256EEEvPyPlllll.kd
    .uniform_work_group_size: 1
    .uses_dynamic_stack: false
    .vgpr_count:     13
    .vgpr_spill_count: 0
    .wavefront_size: 64
  - .args:
      - .offset:         0
        .size:           72
        .value_kind:     by_value
      - .offset:         72
        .size:           8
        .value_kind:     by_value
      - .offset:         80
        .size:           8
        .value_kind:     by_value
      - .offset:         88
        .size:           1
        .value_kind:     by_value
      - .offset:         96
        .size:           4
        .value_kind:     hidden_block_count_x
      - .offset:         100
        .size:           4
        .value_kind:     hidden_block_count_y
      - .offset:         104
        .size:           4
        .value_kind:     hidden_block_count_z
      - .offset:         108
        .size:           2
        .value_kind:     hidden_group_size_x
      - .offset:         110
        .size:           2
        .value_kind:     hidden_group_size_y
      - .offset:         112
        .size:           2
        .value_kind:     hidden_group_size_z
      - .offset:         114
        .size:           2
        .value_kind:     hidden_remainder_x
      - .offset:         116
        .size:           2
        .value_kind:     hidden_remainder_y
      - .offset:         118
        .size:           2
        .value_kind:     hidden_remainder_z
      - .offset:         136
        .size:           8
        .value_kind:     hidden_global_offset_x
      - .offset:         144
        .size:           8
        .value_kind:     hidden_global_offset_y
      - .offset:         152
        .size:           8
        .value_kind:     hidden_global_offset_z
      - .offset:         160
        .size:           2
        .value_kind:     hidden_grid_dims
      - .offset:         216
        .size:           4
        .value_kind:     hidden_dynamic_lds_size
    .group_segment_fixed_size: 0
    .kernarg_segment_align: 8
    .kernarg_segment_size: 352
    .language:       OpenCL C
    .language_version:
      - 2
      - 0
    .max_flat_workgroup_size: 256
    .name:           _ZN4RAJA6policy3hip4impl18forallp_hip_kernelINS1_8hip_execINS_17iteration_mapping6DirectENS_3hip11IndexGlobalILNS_9named_dimE0ELi256ELi0EEENS7_40AvoidDeviceMaxThreadOccupancyConcretizerINS7_34FractionOffsetOccupancyConcretizerINS_8FractionImLm1ELm1EEELln1EEEEELb1EEENS_9Iterators16numeric_iteratorIllPlEEZN8rajaperf9algorithm9HISTOGRAM26runHipVariantAtomicRuntimeILl256ELl32ELl4ENSM_11gpu_mapping20global_direct_helperEEEvNSM_9VariantIDEEUllE_lNS_4expt15ForallParamPackIJEEES6_SA_TnNSt9enable_ifIXaasr3std10is_base_ofINS5_10DirectBaseET4_EE5valuegtsrT5_10block_sizeLi0EEmE4typeELm256EEEvT1_T0_T2_T3_
    .private_segment_fixed_size: 0
    .sgpr_count:     34
    .sgpr_spill_count: 0
    .symbol:         _ZN4RAJA6policy3hip4impl18forallp_hip_kernelINS1_8hip_execINS_17iteration_mapping6DirectENS_3hip11IndexGlobalILNS_9named_dimE0ELi256ELi0EEENS7_40AvoidDeviceMaxThreadOccupancyConcretizerINS7_34FractionOffsetOccupancyConcretizerINS_8FractionImLm1ELm1EEELln1EEEEELb1EEENS_9Iterators16numeric_iteratorIllPlEEZN8rajaperf9algorithm9HISTOGRAM26runHipVariantAtomicRuntimeILl256ELl32ELl4ENSM_11gpu_mapping20global_direct_helperEEEvNSM_9VariantIDEEUllE_lNS_4expt15ForallParamPackIJEEES6_SA_TnNSt9enable_ifIXaasr3std10is_base_ofINS5_10DirectBaseET4_EE5valuegtsrT5_10block_sizeLi0EEmE4typeELm256EEEvT1_T0_T2_T3_.kd
    .uniform_work_group_size: 1
    .uses_dynamic_stack: false
    .vgpr_count:     9
    .vgpr_spill_count: 0
    .wavefront_size: 64
  - .args:
      - .offset:         0
        .size:           72
        .value_kind:     by_value
      - .offset:         72
        .size:           8
        .value_kind:     by_value
      - .offset:         80
        .size:           8
        .value_kind:     by_value
      - .offset:         88
        .size:           1
        .value_kind:     by_value
      - .offset:         96
        .size:           4
        .value_kind:     hidden_block_count_x
      - .offset:         100
        .size:           4
        .value_kind:     hidden_block_count_y
      - .offset:         104
        .size:           4
        .value_kind:     hidden_block_count_z
      - .offset:         108
        .size:           2
        .value_kind:     hidden_group_size_x
      - .offset:         110
        .size:           2
        .value_kind:     hidden_group_size_y
      - .offset:         112
        .size:           2
        .value_kind:     hidden_group_size_z
      - .offset:         114
        .size:           2
        .value_kind:     hidden_remainder_x
      - .offset:         116
        .size:           2
        .value_kind:     hidden_remainder_y
      - .offset:         118
        .size:           2
        .value_kind:     hidden_remainder_z
      - .offset:         136
        .size:           8
        .value_kind:     hidden_global_offset_x
      - .offset:         144
        .size:           8
        .value_kind:     hidden_global_offset_y
      - .offset:         152
        .size:           8
        .value_kind:     hidden_global_offset_z
      - .offset:         160
        .size:           2
        .value_kind:     hidden_grid_dims
      - .offset:         216
        .size:           4
        .value_kind:     hidden_dynamic_lds_size
    .group_segment_fixed_size: 0
    .kernarg_segment_align: 8
    .kernarg_segment_size: 352
    .language:       OpenCL C
    .language_version:
      - 2
      - 0
    .max_flat_workgroup_size: 256
    .name:           _ZN4RAJA6policy3hip4impl18forallp_hip_kernelINS1_8hip_execINS_17iteration_mapping11StridedLoopILm0EEENS_3hip11IndexGlobalILNS_9named_dimE0ELi256ELi0EEENS8_40AvoidDeviceMaxThreadOccupancyConcretizerINS8_34FractionOffsetOccupancyConcretizerINS_8FractionImLm1ELm1EEELln1EEEEELb1EEENS_9Iterators16numeric_iteratorIllPlEEZN8rajaperf9algorithm9HISTOGRAM26runHipVariantAtomicRuntimeILl256ELl32ELl4ENSN_11gpu_mapping40global_loop_occupancy_grid_stride_helperEEEvNSN_9VariantIDEEUllE_lNS_4expt15ForallParamPackIJEEES7_SB_TnNSt9enable_ifIXaaaasr3std10is_base_ofINS5_15StridedLoopBaseET4_EE5valuesr3std10is_base_ofINS5_15UnsizedLoopBaseES10_EE5valuegtsrT5_10block_sizeLi0EEmE4typeELm256EEEvT1_T0_T2_T3_
    .private_segment_fixed_size: 0
    .sgpr_count:     46
    .sgpr_spill_count: 0
    .symbol:         _ZN4RAJA6policy3hip4impl18forallp_hip_kernelINS1_8hip_execINS_17iteration_mapping11StridedLoopILm0EEENS_3hip11IndexGlobalILNS_9named_dimE0ELi256ELi0EEENS8_40AvoidDeviceMaxThreadOccupancyConcretizerINS8_34FractionOffsetOccupancyConcretizerINS_8FractionImLm1ELm1EEELln1EEEEELb1EEENS_9Iterators16numeric_iteratorIllPlEEZN8rajaperf9algorithm9HISTOGRAM26runHipVariantAtomicRuntimeILl256ELl32ELl4ENSN_11gpu_mapping40global_loop_occupancy_grid_stride_helperEEEvNSN_9VariantIDEEUllE_lNS_4expt15ForallParamPackIJEEES7_SB_TnNSt9enable_ifIXaaaasr3std10is_base_ofINS5_15StridedLoopBaseET4_EE5valuesr3std10is_base_ofINS5_15UnsizedLoopBaseES10_EE5valuegtsrT5_10block_sizeLi0EEmE4typeELm256EEEvT1_T0_T2_T3_.kd
    .uniform_work_group_size: 1
    .uses_dynamic_stack: false
    .vgpr_count:     15
    .vgpr_spill_count: 0
    .wavefront_size: 64
amdhsa.target:   amdgcn-amd-amdhsa--gfx906
amdhsa.version:
  - 1
  - 2
...

	.end_amdgpu_metadata
